;; amdgpu-corpus repo=ROCm/rocThrust kind=compiled arch=gfx1100 opt=O3
	.text
	.amdgcn_target "amdgcn-amd-amdhsa--gfx1100"
	.amdhsa_code_object_version 6
	.section	.text._ZN6thrust23THRUST_200600_302600_NS11hip_rocprim14__parallel_for6kernelILj256ENS1_11__transform17unary_transform_fINS0_12zip_iteratorINS0_5tupleINS0_6detail15normal_iteratorINS0_10device_ptrIiEEEESC_SC_SC_SC_SC_SC_SC_SC_NS0_17counting_iteratorIiNS0_11use_defaultESE_SE_EEEEEESC_NS4_14no_stencil_tagE10minFunctorNS4_21always_true_predicateEEElLj1EEEvT0_T1_SN_,"axG",@progbits,_ZN6thrust23THRUST_200600_302600_NS11hip_rocprim14__parallel_for6kernelILj256ENS1_11__transform17unary_transform_fINS0_12zip_iteratorINS0_5tupleINS0_6detail15normal_iteratorINS0_10device_ptrIiEEEESC_SC_SC_SC_SC_SC_SC_SC_NS0_17counting_iteratorIiNS0_11use_defaultESE_SE_EEEEEESC_NS4_14no_stencil_tagE10minFunctorNS4_21always_true_predicateEEElLj1EEEvT0_T1_SN_,comdat
	.protected	_ZN6thrust23THRUST_200600_302600_NS11hip_rocprim14__parallel_for6kernelILj256ENS1_11__transform17unary_transform_fINS0_12zip_iteratorINS0_5tupleINS0_6detail15normal_iteratorINS0_10device_ptrIiEEEESC_SC_SC_SC_SC_SC_SC_SC_NS0_17counting_iteratorIiNS0_11use_defaultESE_SE_EEEEEESC_NS4_14no_stencil_tagE10minFunctorNS4_21always_true_predicateEEElLj1EEEvT0_T1_SN_ ; -- Begin function _ZN6thrust23THRUST_200600_302600_NS11hip_rocprim14__parallel_for6kernelILj256ENS1_11__transform17unary_transform_fINS0_12zip_iteratorINS0_5tupleINS0_6detail15normal_iteratorINS0_10device_ptrIiEEEESC_SC_SC_SC_SC_SC_SC_SC_NS0_17counting_iteratorIiNS0_11use_defaultESE_SE_EEEEEESC_NS4_14no_stencil_tagE10minFunctorNS4_21always_true_predicateEEElLj1EEEvT0_T1_SN_
	.globl	_ZN6thrust23THRUST_200600_302600_NS11hip_rocprim14__parallel_for6kernelILj256ENS1_11__transform17unary_transform_fINS0_12zip_iteratorINS0_5tupleINS0_6detail15normal_iteratorINS0_10device_ptrIiEEEESC_SC_SC_SC_SC_SC_SC_SC_NS0_17counting_iteratorIiNS0_11use_defaultESE_SE_EEEEEESC_NS4_14no_stencil_tagE10minFunctorNS4_21always_true_predicateEEElLj1EEEvT0_T1_SN_
	.p2align	8
	.type	_ZN6thrust23THRUST_200600_302600_NS11hip_rocprim14__parallel_for6kernelILj256ENS1_11__transform17unary_transform_fINS0_12zip_iteratorINS0_5tupleINS0_6detail15normal_iteratorINS0_10device_ptrIiEEEESC_SC_SC_SC_SC_SC_SC_SC_NS0_17counting_iteratorIiNS0_11use_defaultESE_SE_EEEEEESC_NS4_14no_stencil_tagE10minFunctorNS4_21always_true_predicateEEElLj1EEEvT0_T1_SN_,@function
_ZN6thrust23THRUST_200600_302600_NS11hip_rocprim14__parallel_for6kernelILj256ENS1_11__transform17unary_transform_fINS0_12zip_iteratorINS0_5tupleINS0_6detail15normal_iteratorINS0_10device_ptrIiEEEESC_SC_SC_SC_SC_SC_SC_SC_NS0_17counting_iteratorIiNS0_11use_defaultESE_SE_EEEEEESC_NS4_14no_stencil_tagE10minFunctorNS4_21always_true_predicateEEElLj1EEEvT0_T1_SN_: ; @_ZN6thrust23THRUST_200600_302600_NS11hip_rocprim14__parallel_for6kernelILj256ENS1_11__transform17unary_transform_fINS0_12zip_iteratorINS0_5tupleINS0_6detail15normal_iteratorINS0_10device_ptrIiEEEESC_SC_SC_SC_SC_SC_SC_SC_NS0_17counting_iteratorIiNS0_11use_defaultESE_SE_EEEEEESC_NS4_14no_stencil_tagE10minFunctorNS4_21always_true_predicateEEElLj1EEEvT0_T1_SN_
; %bb.0:
	s_clause 0x3
	s_load_b256 s[4:11], s[0:1], 0x58
	s_load_b512 s[16:31], s[0:1], 0x0
	s_load_b64 s[12:13], s[0:1], 0x40
	s_load_b32 s3, s[0:1], 0x48
	s_lshl_b32 s2, s15, 8
	s_waitcnt lgkmcnt(0)
	s_add_u32 s7, s2, s10
	s_addc_u32 s10, 0, s11
	s_sub_u32 s8, s8, s7
	s_subb_u32 s9, s9, s10
	s_delay_alu instid0(SALU_CYCLE_1) | instskip(NEXT) | instid1(VALU_DEP_1)
	v_cmp_gt_i64_e64 s2, 0x100, s[8:9]
	s_and_b32 s2, s2, exec_lo
	s_cselect_b32 s8, s8, 0x100
	s_mov_b32 s2, 0
	s_cmpk_lg_i32 s8, 0x100
	s_cbranch_scc0 .LBB0_35
; %bb.1:
	v_cmp_gt_u32_e32 vcc_lo, s8, v0
	s_mov_b32 s8, 0
                                        ; implicit-def: $vgpr5
                                        ; implicit-def: $vgpr1_vgpr2
	s_and_saveexec_b32 s9, vcc_lo
	s_cbranch_execz .LBB0_36
; %bb.2:
	v_add_co_u32 v1, s2, s7, v0
	s_delay_alu instid0(VALU_DEP_1) | instskip(SKIP_3) | instid1(VALU_DEP_1)
	v_add_co_ci_u32_e64 v2, null, s10, 0, s2
	s_abs_i32 s11, s4
	s_ashr_i32 s14, s4, 31
	s_sub_i32 s2, 0, s11
	v_lshlrev_b64 v[3:4], 2, v[1:2]
	s_mov_b32 s15, exec_lo
	v_add_nc_u32_e32 v9, s3, v1
	s_delay_alu instid0(VALU_DEP_2) | instskip(NEXT) | instid1(VALU_DEP_3)
	v_add_co_u32 v5, vcc_lo, s16, v3
	v_add_co_ci_u32_e32 v6, vcc_lo, s17, v4, vcc_lo
	s_delay_alu instid0(VALU_DEP_3) | instskip(SKIP_3) | instid1(VALU_DEP_2)
	v_sub_nc_u32_e32 v8, 0, v9
	global_load_b32 v5, v[5:6], off
	v_cvt_f32_u32_e32 v6, s11
	v_max_i32_e32 v10, v9, v8
	v_rcp_iflag_f32_e32 v6, v6
	s_waitcnt_depctr 0xfff
	v_mul_f32_e32 v6, 0x4f7ffffe, v6
	s_delay_alu instid0(VALU_DEP_1) | instskip(NEXT) | instid1(VALU_DEP_1)
	v_cvt_u32_f32_e32 v6, v6
	v_mul_lo_u32 v7, s2, v6
	s_delay_alu instid0(VALU_DEP_1) | instskip(NEXT) | instid1(VALU_DEP_1)
	v_mul_hi_u32 v7, v6, v7
	v_add_nc_u32_e32 v8, v6, v7
	s_delay_alu instid0(VALU_DEP_1) | instskip(NEXT) | instid1(VALU_DEP_1)
	v_mul_hi_u32 v6, v10, v8
	v_mul_lo_u32 v7, v6, s11
	s_delay_alu instid0(VALU_DEP_1) | instskip(NEXT) | instid1(VALU_DEP_1)
	v_sub_nc_u32_e32 v7, v10, v7
	v_subrev_nc_u32_e32 v11, s11, v7
	v_cmp_le_u32_e32 vcc_lo, s11, v7
	s_delay_alu instid0(VALU_DEP_2) | instskip(NEXT) | instid1(VALU_DEP_1)
	v_dual_cndmask_b32 v7, v7, v11 :: v_dual_add_nc_u32 v10, 1, v6
	v_cndmask_b32_e32 v6, v6, v10, vcc_lo
	v_ashrrev_i32_e32 v10, 31, v9
	s_delay_alu instid0(VALU_DEP_3) | instskip(NEXT) | instid1(VALU_DEP_3)
	v_cmp_le_u32_e32 vcc_lo, s11, v7
	v_add_nc_u32_e32 v11, 1, v6
	s_delay_alu instid0(VALU_DEP_3) | instskip(NEXT) | instid1(VALU_DEP_2)
	v_xor_b32_e32 v10, s14, v10
	v_cndmask_b32_e32 v6, v6, v11, vcc_lo
	s_delay_alu instid0(VALU_DEP_1) | instskip(NEXT) | instid1(VALU_DEP_1)
	v_xor_b32_e32 v6, v6, v10
	v_sub_nc_u32_e32 v7, v6, v10
	s_delay_alu instid0(VALU_DEP_1) | instskip(NEXT) | instid1(VALU_DEP_1)
	v_mul_lo_u32 v6, v7, s4
	v_sub_nc_u32_e32 v6, v9, v6
	s_delay_alu instid0(VALU_DEP_1)
	v_cmpx_le_i32_e64 s6, v6
	s_cbranch_execz .LBB0_14
; %bb.3:
	v_add_co_u32 v9, vcc_lo, s22, v3
	v_add_co_ci_u32_e32 v10, vcc_lo, s23, v4, vcc_lo
	s_mul_i32 s33, s5, s4
	s_mov_b32 s34, exec_lo
	global_load_b32 v9, v[9:10], off
	s_waitcnt vmcnt(0)
	v_cmpx_ne_u32_e64 s33, v9
	s_cbranch_execz .LBB0_5
; %bb.4:
	v_sub_nc_u32_e32 v10, 0, v9
	v_sub_nc_u32_e32 v11, 0, v5
	v_ashrrev_i32_e32 v16, 31, v9
	v_ashrrev_i32_e32 v17, 31, v5
	s_delay_alu instid0(VALU_DEP_4) | instskip(NEXT) | instid1(VALU_DEP_4)
	v_max_i32_e32 v10, v9, v10
	v_max_i32_e32 v11, v5, v11
	s_delay_alu instid0(VALU_DEP_3) | instskip(NEXT) | instid1(VALU_DEP_3)
	v_xor_b32_e32 v17, s14, v17
	v_mul_hi_u32 v12, v10, v8
	s_delay_alu instid0(VALU_DEP_3) | instskip(NEXT) | instid1(VALU_DEP_2)
	v_mul_hi_u32 v13, v11, v8
	v_mul_lo_u32 v14, v12, s11
	s_delay_alu instid0(VALU_DEP_2) | instskip(NEXT) | instid1(VALU_DEP_2)
	v_mul_lo_u32 v15, v13, s11
	v_sub_nc_u32_e32 v10, v10, v14
	s_delay_alu instid0(VALU_DEP_2) | instskip(SKIP_1) | instid1(VALU_DEP_3)
	v_sub_nc_u32_e32 v11, v11, v15
	v_add_nc_u32_e32 v14, 1, v12
	v_cmp_le_u32_e32 vcc_lo, s11, v10
	v_add_nc_u32_e32 v15, 1, v13
	s_delay_alu instid0(VALU_DEP_4) | instskip(SKIP_3) | instid1(VALU_DEP_4)
	v_cmp_le_u32_e64 s2, s11, v11
	v_subrev_nc_u32_e32 v18, s11, v11
	v_cndmask_b32_e32 v12, v12, v14, vcc_lo
	v_subrev_nc_u32_e32 v14, s11, v10
	v_cndmask_b32_e64 v13, v13, v15, s2
	v_xor_b32_e32 v15, s14, v16
	v_cndmask_b32_e64 v11, v11, v18, s2
	s_delay_alu instid0(VALU_DEP_3) | instskip(SKIP_2) | instid1(VALU_DEP_2)
	v_add_nc_u32_e32 v16, 1, v13
	v_cndmask_b32_e32 v10, v10, v14, vcc_lo
	v_add_nc_u32_e32 v14, 1, v12
	v_cmp_le_u32_e32 vcc_lo, s11, v10
	s_delay_alu instid0(VALU_DEP_2) | instskip(SKIP_1) | instid1(VALU_DEP_2)
	v_cndmask_b32_e32 v10, v12, v14, vcc_lo
	v_cmp_le_u32_e32 vcc_lo, s11, v11
	v_xor_b32_e32 v10, v10, v15
	v_cndmask_b32_e32 v11, v13, v16, vcc_lo
	s_delay_alu instid0(VALU_DEP_2) | instskip(NEXT) | instid1(VALU_DEP_2)
	v_sub_nc_u32_e32 v10, v10, v15
	v_xor_b32_e32 v11, v11, v17
	s_delay_alu instid0(VALU_DEP_2) | instskip(NEXT) | instid1(VALU_DEP_2)
	v_mul_lo_u32 v12, v10, s4
	v_sub_nc_u32_e32 v11, v11, v17
	v_sub_nc_u32_e32 v10, v7, v10
	s_delay_alu instid0(VALU_DEP_2) | instskip(SKIP_2) | instid1(VALU_DEP_4)
	v_mul_lo_u32 v13, v11, s4
	v_sub_nc_u32_e32 v11, v7, v11
	v_sub_nc_u32_e32 v12, v12, v9
	v_mul_lo_u32 v10, v10, v10
	s_delay_alu instid0(VALU_DEP_3) | instskip(NEXT) | instid1(VALU_DEP_3)
	v_mul_lo_u32 v11, v11, v11
	v_add_nc_u32_e32 v14, v12, v6
	v_sub_nc_u32_e32 v13, v13, v5
	s_delay_alu instid0(VALU_DEP_1) | instskip(NEXT) | instid1(VALU_DEP_3)
	v_add_nc_u32_e32 v15, v13, v6
	v_mad_u64_u32 v[12:13], null, v14, v14, v[10:11]
	s_delay_alu instid0(VALU_DEP_1) | instskip(NEXT) | instid1(VALU_DEP_1)
	v_mad_u64_u32 v[13:14], null, v15, v15, v[11:12]
	v_cmp_lt_u32_e32 vcc_lo, v12, v13
	v_cndmask_b32_e32 v5, v5, v9, vcc_lo
.LBB0_5:
	s_or_b32 exec_lo, exec_lo, s34
	s_delay_alu instid0(SALU_CYCLE_1)
	s_mov_b32 s34, exec_lo
	v_cmpx_le_i32_e64 s6, v7
	s_cbranch_execz .LBB0_9
; %bb.6:
	v_add_co_u32 v9, vcc_lo, s12, v3
	v_add_co_ci_u32_e32 v10, vcc_lo, s13, v4, vcc_lo
	s_mov_b32 s35, exec_lo
	global_load_b32 v9, v[9:10], off
	s_waitcnt vmcnt(0)
	v_cmpx_ne_u32_e64 s33, v9
	s_cbranch_execz .LBB0_8
; %bb.7:
	v_sub_nc_u32_e32 v10, 0, v9
	v_sub_nc_u32_e32 v11, 0, v5
	v_ashrrev_i32_e32 v16, 31, v9
	v_ashrrev_i32_e32 v17, 31, v5
	s_delay_alu instid0(VALU_DEP_4) | instskip(NEXT) | instid1(VALU_DEP_4)
	v_max_i32_e32 v10, v9, v10
	v_max_i32_e32 v11, v5, v11
	s_delay_alu instid0(VALU_DEP_3) | instskip(NEXT) | instid1(VALU_DEP_3)
	v_xor_b32_e32 v17, s14, v17
	v_mul_hi_u32 v12, v10, v8
	s_delay_alu instid0(VALU_DEP_3) | instskip(NEXT) | instid1(VALU_DEP_2)
	v_mul_hi_u32 v13, v11, v8
	v_mul_lo_u32 v14, v12, s11
	s_delay_alu instid0(VALU_DEP_2) | instskip(NEXT) | instid1(VALU_DEP_2)
	v_mul_lo_u32 v15, v13, s11
	v_sub_nc_u32_e32 v10, v10, v14
	s_delay_alu instid0(VALU_DEP_2) | instskip(SKIP_1) | instid1(VALU_DEP_3)
	v_sub_nc_u32_e32 v11, v11, v15
	v_add_nc_u32_e32 v14, 1, v12
	v_cmp_le_u32_e32 vcc_lo, s11, v10
	v_add_nc_u32_e32 v15, 1, v13
	s_delay_alu instid0(VALU_DEP_4) | instskip(SKIP_3) | instid1(VALU_DEP_4)
	v_cmp_le_u32_e64 s2, s11, v11
	v_subrev_nc_u32_e32 v18, s11, v11
	v_cndmask_b32_e32 v12, v12, v14, vcc_lo
	v_subrev_nc_u32_e32 v14, s11, v10
	v_cndmask_b32_e64 v13, v13, v15, s2
	v_xor_b32_e32 v15, s14, v16
	v_cndmask_b32_e64 v11, v11, v18, s2
	s_delay_alu instid0(VALU_DEP_3) | instskip(SKIP_2) | instid1(VALU_DEP_2)
	v_add_nc_u32_e32 v16, 1, v13
	v_cndmask_b32_e32 v10, v10, v14, vcc_lo
	v_add_nc_u32_e32 v14, 1, v12
	v_cmp_le_u32_e32 vcc_lo, s11, v10
	s_delay_alu instid0(VALU_DEP_2) | instskip(SKIP_1) | instid1(VALU_DEP_2)
	v_cndmask_b32_e32 v10, v12, v14, vcc_lo
	v_cmp_le_u32_e32 vcc_lo, s11, v11
	v_xor_b32_e32 v10, v10, v15
	v_cndmask_b32_e32 v11, v13, v16, vcc_lo
	s_delay_alu instid0(VALU_DEP_2) | instskip(NEXT) | instid1(VALU_DEP_2)
	v_sub_nc_u32_e32 v10, v10, v15
	v_xor_b32_e32 v11, v11, v17
	s_delay_alu instid0(VALU_DEP_2) | instskip(NEXT) | instid1(VALU_DEP_2)
	v_mul_lo_u32 v12, v10, s4
	v_sub_nc_u32_e32 v11, v11, v17
	v_sub_nc_u32_e32 v10, v7, v10
	s_delay_alu instid0(VALU_DEP_2) | instskip(SKIP_2) | instid1(VALU_DEP_4)
	v_mul_lo_u32 v13, v11, s4
	v_sub_nc_u32_e32 v11, v7, v11
	v_sub_nc_u32_e32 v12, v12, v9
	v_mul_lo_u32 v10, v10, v10
	s_delay_alu instid0(VALU_DEP_3) | instskip(NEXT) | instid1(VALU_DEP_3)
	v_mul_lo_u32 v11, v11, v11
	v_add_nc_u32_e32 v14, v12, v6
	v_sub_nc_u32_e32 v13, v13, v5
	s_delay_alu instid0(VALU_DEP_1) | instskip(NEXT) | instid1(VALU_DEP_3)
	v_add_nc_u32_e32 v15, v13, v6
	v_mad_u64_u32 v[12:13], null, v14, v14, v[10:11]
	s_delay_alu instid0(VALU_DEP_1) | instskip(NEXT) | instid1(VALU_DEP_1)
	v_mad_u64_u32 v[13:14], null, v15, v15, v[11:12]
	v_cmp_lt_u32_e32 vcc_lo, v12, v13
	v_cndmask_b32_e32 v5, v5, v9, vcc_lo
.LBB0_8:
	s_or_b32 exec_lo, exec_lo, s35
.LBB0_9:
	s_delay_alu instid0(SALU_CYCLE_1) | instskip(SKIP_2) | instid1(VALU_DEP_1)
	s_or_b32 exec_lo, exec_lo, s34
	v_add_nc_u32_e32 v9, s6, v7
	s_mov_b32 s34, exec_lo
	v_cmpx_gt_i32_e64 s5, v9
	s_cbranch_execz .LBB0_13
; %bb.10:
	v_add_co_u32 v9, vcc_lo, s30, v3
	v_add_co_ci_u32_e32 v10, vcc_lo, s31, v4, vcc_lo
	global_load_b32 v9, v[9:10], off
	s_waitcnt vmcnt(0)
	v_cmp_ne_u32_e32 vcc_lo, s33, v9
	s_and_saveexec_b32 s33, vcc_lo
	s_cbranch_execz .LBB0_12
; %bb.11:
	v_sub_nc_u32_e32 v10, 0, v9
	v_sub_nc_u32_e32 v11, 0, v5
	v_ashrrev_i32_e32 v16, 31, v9
	v_ashrrev_i32_e32 v17, 31, v5
	s_delay_alu instid0(VALU_DEP_4) | instskip(NEXT) | instid1(VALU_DEP_4)
	v_max_i32_e32 v10, v9, v10
	v_max_i32_e32 v11, v5, v11
	s_delay_alu instid0(VALU_DEP_3) | instskip(NEXT) | instid1(VALU_DEP_3)
	v_xor_b32_e32 v17, s14, v17
	v_mul_hi_u32 v12, v10, v8
	s_delay_alu instid0(VALU_DEP_3) | instskip(NEXT) | instid1(VALU_DEP_2)
	v_mul_hi_u32 v13, v11, v8
	v_mul_lo_u32 v14, v12, s11
	s_delay_alu instid0(VALU_DEP_2) | instskip(NEXT) | instid1(VALU_DEP_2)
	v_mul_lo_u32 v15, v13, s11
	v_sub_nc_u32_e32 v10, v10, v14
	s_delay_alu instid0(VALU_DEP_2) | instskip(SKIP_1) | instid1(VALU_DEP_3)
	v_sub_nc_u32_e32 v11, v11, v15
	v_add_nc_u32_e32 v14, 1, v12
	v_cmp_le_u32_e32 vcc_lo, s11, v10
	v_add_nc_u32_e32 v15, 1, v13
	s_delay_alu instid0(VALU_DEP_4) | instskip(SKIP_3) | instid1(VALU_DEP_4)
	v_cmp_le_u32_e64 s2, s11, v11
	v_subrev_nc_u32_e32 v18, s11, v11
	v_cndmask_b32_e32 v12, v12, v14, vcc_lo
	v_subrev_nc_u32_e32 v14, s11, v10
	v_cndmask_b32_e64 v13, v13, v15, s2
	v_xor_b32_e32 v15, s14, v16
	v_cndmask_b32_e64 v11, v11, v18, s2
	s_delay_alu instid0(VALU_DEP_3) | instskip(SKIP_2) | instid1(VALU_DEP_2)
	v_add_nc_u32_e32 v16, 1, v13
	v_cndmask_b32_e32 v10, v10, v14, vcc_lo
	v_add_nc_u32_e32 v14, 1, v12
	v_cmp_le_u32_e32 vcc_lo, s11, v10
	s_delay_alu instid0(VALU_DEP_2) | instskip(SKIP_1) | instid1(VALU_DEP_2)
	v_cndmask_b32_e32 v10, v12, v14, vcc_lo
	v_cmp_le_u32_e32 vcc_lo, s11, v11
	v_xor_b32_e32 v10, v10, v15
	v_cndmask_b32_e32 v11, v13, v16, vcc_lo
	s_delay_alu instid0(VALU_DEP_2) | instskip(NEXT) | instid1(VALU_DEP_2)
	v_sub_nc_u32_e32 v10, v10, v15
	v_xor_b32_e32 v11, v11, v17
	s_delay_alu instid0(VALU_DEP_2) | instskip(NEXT) | instid1(VALU_DEP_2)
	v_mul_lo_u32 v12, v10, s4
	v_sub_nc_u32_e32 v11, v11, v17
	v_sub_nc_u32_e32 v10, v7, v10
	s_delay_alu instid0(VALU_DEP_2) | instskip(SKIP_2) | instid1(VALU_DEP_4)
	v_mul_lo_u32 v13, v11, s4
	v_sub_nc_u32_e32 v11, v7, v11
	v_sub_nc_u32_e32 v12, v12, v9
	v_mul_lo_u32 v10, v10, v10
	s_delay_alu instid0(VALU_DEP_3) | instskip(NEXT) | instid1(VALU_DEP_3)
	v_mul_lo_u32 v11, v11, v11
	v_add_nc_u32_e32 v14, v12, v6
	v_sub_nc_u32_e32 v13, v13, v5
	s_delay_alu instid0(VALU_DEP_1) | instskip(NEXT) | instid1(VALU_DEP_3)
	v_add_nc_u32_e32 v15, v13, v6
	v_mad_u64_u32 v[12:13], null, v14, v14, v[10:11]
	s_delay_alu instid0(VALU_DEP_1) | instskip(NEXT) | instid1(VALU_DEP_1)
	v_mad_u64_u32 v[13:14], null, v15, v15, v[11:12]
	v_cmp_lt_u32_e32 vcc_lo, v12, v13
	v_cndmask_b32_e32 v5, v5, v9, vcc_lo
.LBB0_12:
	s_or_b32 exec_lo, exec_lo, s33
.LBB0_13:
	s_delay_alu instid0(SALU_CYCLE_1)
	s_or_b32 exec_lo, exec_lo, s34
.LBB0_14:
	s_delay_alu instid0(SALU_CYCLE_1) | instskip(SKIP_2) | instid1(VALU_DEP_1)
	s_or_b32 exec_lo, exec_lo, s15
	v_add_nc_u32_e32 v9, s6, v6
	s_mov_b32 s15, exec_lo
	v_cmpx_gt_i32_e64 s4, v9
	s_cbranch_execz .LBB0_26
; %bb.15:
	v_add_co_u32 v9, vcc_lo, s18, v3
	v_add_co_ci_u32_e32 v10, vcc_lo, s19, v4, vcc_lo
	s_mul_i32 s33, s5, s4
	s_mov_b32 s34, exec_lo
	global_load_b32 v9, v[9:10], off
	s_waitcnt vmcnt(0)
	v_cmpx_ne_u32_e64 s33, v9
	s_cbranch_execz .LBB0_17
; %bb.16:
	v_sub_nc_u32_e32 v10, 0, v9
	v_sub_nc_u32_e32 v11, 0, v5
	v_ashrrev_i32_e32 v16, 31, v9
	v_ashrrev_i32_e32 v17, 31, v5
	s_delay_alu instid0(VALU_DEP_4) | instskip(NEXT) | instid1(VALU_DEP_4)
	v_max_i32_e32 v10, v9, v10
	v_max_i32_e32 v11, v5, v11
	s_delay_alu instid0(VALU_DEP_3) | instskip(NEXT) | instid1(VALU_DEP_3)
	v_xor_b32_e32 v17, s14, v17
	v_mul_hi_u32 v12, v10, v8
	s_delay_alu instid0(VALU_DEP_3) | instskip(NEXT) | instid1(VALU_DEP_2)
	v_mul_hi_u32 v13, v11, v8
	v_mul_lo_u32 v14, v12, s11
	s_delay_alu instid0(VALU_DEP_2) | instskip(NEXT) | instid1(VALU_DEP_2)
	v_mul_lo_u32 v15, v13, s11
	v_sub_nc_u32_e32 v10, v10, v14
	s_delay_alu instid0(VALU_DEP_2) | instskip(SKIP_1) | instid1(VALU_DEP_3)
	v_sub_nc_u32_e32 v11, v11, v15
	v_add_nc_u32_e32 v14, 1, v12
	v_cmp_le_u32_e32 vcc_lo, s11, v10
	v_add_nc_u32_e32 v15, 1, v13
	s_delay_alu instid0(VALU_DEP_4) | instskip(SKIP_3) | instid1(VALU_DEP_4)
	v_cmp_le_u32_e64 s2, s11, v11
	v_subrev_nc_u32_e32 v18, s11, v11
	v_cndmask_b32_e32 v12, v12, v14, vcc_lo
	v_subrev_nc_u32_e32 v14, s11, v10
	v_cndmask_b32_e64 v13, v13, v15, s2
	v_xor_b32_e32 v15, s14, v16
	v_cndmask_b32_e64 v11, v11, v18, s2
	s_delay_alu instid0(VALU_DEP_3) | instskip(SKIP_2) | instid1(VALU_DEP_2)
	v_add_nc_u32_e32 v16, 1, v13
	v_cndmask_b32_e32 v10, v10, v14, vcc_lo
	v_add_nc_u32_e32 v14, 1, v12
	v_cmp_le_u32_e32 vcc_lo, s11, v10
	s_delay_alu instid0(VALU_DEP_2) | instskip(SKIP_1) | instid1(VALU_DEP_2)
	v_cndmask_b32_e32 v10, v12, v14, vcc_lo
	v_cmp_le_u32_e32 vcc_lo, s11, v11
	v_xor_b32_e32 v10, v10, v15
	v_cndmask_b32_e32 v11, v13, v16, vcc_lo
	s_delay_alu instid0(VALU_DEP_2) | instskip(NEXT) | instid1(VALU_DEP_2)
	v_sub_nc_u32_e32 v10, v10, v15
	v_xor_b32_e32 v11, v11, v17
	s_delay_alu instid0(VALU_DEP_2) | instskip(NEXT) | instid1(VALU_DEP_2)
	v_mul_lo_u32 v12, v10, s4
	v_sub_nc_u32_e32 v11, v11, v17
	v_sub_nc_u32_e32 v10, v7, v10
	s_delay_alu instid0(VALU_DEP_2) | instskip(SKIP_2) | instid1(VALU_DEP_4)
	v_mul_lo_u32 v13, v11, s4
	v_sub_nc_u32_e32 v11, v7, v11
	v_sub_nc_u32_e32 v12, v12, v9
	v_mul_lo_u32 v10, v10, v10
	s_delay_alu instid0(VALU_DEP_3) | instskip(NEXT) | instid1(VALU_DEP_3)
	v_mul_lo_u32 v11, v11, v11
	v_add_nc_u32_e32 v14, v12, v6
	v_sub_nc_u32_e32 v13, v13, v5
	s_delay_alu instid0(VALU_DEP_1) | instskip(NEXT) | instid1(VALU_DEP_3)
	v_add_nc_u32_e32 v15, v13, v6
	v_mad_u64_u32 v[12:13], null, v14, v14, v[10:11]
	s_delay_alu instid0(VALU_DEP_1) | instskip(NEXT) | instid1(VALU_DEP_1)
	v_mad_u64_u32 v[13:14], null, v15, v15, v[11:12]
	v_cmp_lt_u32_e32 vcc_lo, v12, v13
	v_cndmask_b32_e32 v5, v5, v9, vcc_lo
.LBB0_17:
	s_or_b32 exec_lo, exec_lo, s34
	s_delay_alu instid0(SALU_CYCLE_1)
	s_mov_b32 s34, exec_lo
	v_cmpx_le_i32_e64 s6, v7
	s_cbranch_execz .LBB0_21
; %bb.18:
	v_add_co_u32 v9, vcc_lo, s28, v3
	v_add_co_ci_u32_e32 v10, vcc_lo, s29, v4, vcc_lo
	s_mov_b32 s35, exec_lo
	global_load_b32 v9, v[9:10], off
	s_waitcnt vmcnt(0)
	v_cmpx_ne_u32_e64 s33, v9
	s_cbranch_execz .LBB0_20
; %bb.19:
	v_sub_nc_u32_e32 v10, 0, v9
	v_sub_nc_u32_e32 v11, 0, v5
	v_ashrrev_i32_e32 v16, 31, v9
	v_ashrrev_i32_e32 v17, 31, v5
	s_delay_alu instid0(VALU_DEP_4) | instskip(NEXT) | instid1(VALU_DEP_4)
	v_max_i32_e32 v10, v9, v10
	v_max_i32_e32 v11, v5, v11
	s_delay_alu instid0(VALU_DEP_3) | instskip(NEXT) | instid1(VALU_DEP_3)
	v_xor_b32_e32 v17, s14, v17
	v_mul_hi_u32 v12, v10, v8
	s_delay_alu instid0(VALU_DEP_3) | instskip(NEXT) | instid1(VALU_DEP_2)
	v_mul_hi_u32 v13, v11, v8
	v_mul_lo_u32 v14, v12, s11
	s_delay_alu instid0(VALU_DEP_2) | instskip(NEXT) | instid1(VALU_DEP_2)
	v_mul_lo_u32 v15, v13, s11
	v_sub_nc_u32_e32 v10, v10, v14
	s_delay_alu instid0(VALU_DEP_2) | instskip(SKIP_1) | instid1(VALU_DEP_3)
	v_sub_nc_u32_e32 v11, v11, v15
	v_add_nc_u32_e32 v14, 1, v12
	v_cmp_le_u32_e32 vcc_lo, s11, v10
	v_add_nc_u32_e32 v15, 1, v13
	s_delay_alu instid0(VALU_DEP_4) | instskip(SKIP_3) | instid1(VALU_DEP_4)
	v_cmp_le_u32_e64 s2, s11, v11
	v_subrev_nc_u32_e32 v18, s11, v11
	v_cndmask_b32_e32 v12, v12, v14, vcc_lo
	v_subrev_nc_u32_e32 v14, s11, v10
	v_cndmask_b32_e64 v13, v13, v15, s2
	v_xor_b32_e32 v15, s14, v16
	v_cndmask_b32_e64 v11, v11, v18, s2
	s_delay_alu instid0(VALU_DEP_3) | instskip(SKIP_2) | instid1(VALU_DEP_2)
	v_add_nc_u32_e32 v16, 1, v13
	v_cndmask_b32_e32 v10, v10, v14, vcc_lo
	v_add_nc_u32_e32 v14, 1, v12
	v_cmp_le_u32_e32 vcc_lo, s11, v10
	s_delay_alu instid0(VALU_DEP_2) | instskip(SKIP_1) | instid1(VALU_DEP_2)
	v_cndmask_b32_e32 v10, v12, v14, vcc_lo
	v_cmp_le_u32_e32 vcc_lo, s11, v11
	v_xor_b32_e32 v10, v10, v15
	v_cndmask_b32_e32 v11, v13, v16, vcc_lo
	s_delay_alu instid0(VALU_DEP_2) | instskip(NEXT) | instid1(VALU_DEP_2)
	v_sub_nc_u32_e32 v10, v10, v15
	v_xor_b32_e32 v11, v11, v17
	s_delay_alu instid0(VALU_DEP_2) | instskip(NEXT) | instid1(VALU_DEP_2)
	v_mul_lo_u32 v12, v10, s4
	v_sub_nc_u32_e32 v11, v11, v17
	v_sub_nc_u32_e32 v10, v7, v10
	s_delay_alu instid0(VALU_DEP_2) | instskip(SKIP_2) | instid1(VALU_DEP_4)
	v_mul_lo_u32 v13, v11, s4
	v_sub_nc_u32_e32 v11, v7, v11
	v_sub_nc_u32_e32 v12, v12, v9
	v_mul_lo_u32 v10, v10, v10
	s_delay_alu instid0(VALU_DEP_3) | instskip(NEXT) | instid1(VALU_DEP_3)
	v_mul_lo_u32 v11, v11, v11
	v_add_nc_u32_e32 v14, v12, v6
	v_sub_nc_u32_e32 v13, v13, v5
	s_delay_alu instid0(VALU_DEP_1) | instskip(NEXT) | instid1(VALU_DEP_3)
	v_add_nc_u32_e32 v15, v13, v6
	v_mad_u64_u32 v[12:13], null, v14, v14, v[10:11]
	s_delay_alu instid0(VALU_DEP_1) | instskip(NEXT) | instid1(VALU_DEP_1)
	v_mad_u64_u32 v[13:14], null, v15, v15, v[11:12]
	v_cmp_lt_u32_e32 vcc_lo, v12, v13
	v_cndmask_b32_e32 v5, v5, v9, vcc_lo
.LBB0_20:
	s_or_b32 exec_lo, exec_lo, s35
.LBB0_21:
	s_delay_alu instid0(SALU_CYCLE_1) | instskip(SKIP_2) | instid1(VALU_DEP_1)
	s_or_b32 exec_lo, exec_lo, s34
	v_add_nc_u32_e32 v9, s6, v7
	s_mov_b32 s34, exec_lo
	v_cmpx_gt_i32_e64 s5, v9
	s_cbranch_execz .LBB0_25
; %bb.22:
	v_add_co_u32 v9, vcc_lo, s26, v3
	v_add_co_ci_u32_e32 v10, vcc_lo, s27, v4, vcc_lo
	global_load_b32 v9, v[9:10], off
	s_waitcnt vmcnt(0)
	v_cmp_ne_u32_e32 vcc_lo, s33, v9
	s_and_saveexec_b32 s33, vcc_lo
	s_cbranch_execz .LBB0_24
; %bb.23:
	v_sub_nc_u32_e32 v10, 0, v9
	v_sub_nc_u32_e32 v11, 0, v5
	v_ashrrev_i32_e32 v16, 31, v9
	v_ashrrev_i32_e32 v17, 31, v5
	s_delay_alu instid0(VALU_DEP_4) | instskip(NEXT) | instid1(VALU_DEP_4)
	v_max_i32_e32 v10, v9, v10
	v_max_i32_e32 v11, v5, v11
	s_delay_alu instid0(VALU_DEP_3) | instskip(NEXT) | instid1(VALU_DEP_3)
	v_xor_b32_e32 v17, s14, v17
	v_mul_hi_u32 v12, v10, v8
	s_delay_alu instid0(VALU_DEP_3) | instskip(NEXT) | instid1(VALU_DEP_2)
	v_mul_hi_u32 v13, v11, v8
	v_mul_lo_u32 v14, v12, s11
	s_delay_alu instid0(VALU_DEP_2) | instskip(NEXT) | instid1(VALU_DEP_2)
	v_mul_lo_u32 v15, v13, s11
	v_sub_nc_u32_e32 v10, v10, v14
	s_delay_alu instid0(VALU_DEP_2) | instskip(SKIP_1) | instid1(VALU_DEP_3)
	v_sub_nc_u32_e32 v11, v11, v15
	v_add_nc_u32_e32 v14, 1, v12
	v_cmp_le_u32_e32 vcc_lo, s11, v10
	v_add_nc_u32_e32 v15, 1, v13
	s_delay_alu instid0(VALU_DEP_4) | instskip(SKIP_3) | instid1(VALU_DEP_4)
	v_cmp_le_u32_e64 s2, s11, v11
	v_subrev_nc_u32_e32 v18, s11, v11
	v_cndmask_b32_e32 v12, v12, v14, vcc_lo
	v_subrev_nc_u32_e32 v14, s11, v10
	v_cndmask_b32_e64 v13, v13, v15, s2
	v_xor_b32_e32 v15, s14, v16
	v_cndmask_b32_e64 v11, v11, v18, s2
	s_delay_alu instid0(VALU_DEP_3) | instskip(SKIP_2) | instid1(VALU_DEP_2)
	v_add_nc_u32_e32 v16, 1, v13
	v_cndmask_b32_e32 v10, v10, v14, vcc_lo
	v_add_nc_u32_e32 v14, 1, v12
	v_cmp_le_u32_e32 vcc_lo, s11, v10
	s_delay_alu instid0(VALU_DEP_2) | instskip(SKIP_1) | instid1(VALU_DEP_2)
	v_cndmask_b32_e32 v10, v12, v14, vcc_lo
	v_cmp_le_u32_e32 vcc_lo, s11, v11
	v_xor_b32_e32 v10, v10, v15
	v_cndmask_b32_e32 v11, v13, v16, vcc_lo
	s_delay_alu instid0(VALU_DEP_2) | instskip(NEXT) | instid1(VALU_DEP_2)
	v_sub_nc_u32_e32 v10, v10, v15
	v_xor_b32_e32 v11, v11, v17
	s_delay_alu instid0(VALU_DEP_2) | instskip(NEXT) | instid1(VALU_DEP_2)
	v_mul_lo_u32 v12, v10, s4
	v_sub_nc_u32_e32 v11, v11, v17
	v_sub_nc_u32_e32 v10, v7, v10
	s_delay_alu instid0(VALU_DEP_2) | instskip(SKIP_2) | instid1(VALU_DEP_4)
	v_mul_lo_u32 v13, v11, s4
	v_sub_nc_u32_e32 v11, v7, v11
	v_sub_nc_u32_e32 v12, v12, v9
	v_mul_lo_u32 v10, v10, v10
	s_delay_alu instid0(VALU_DEP_3) | instskip(NEXT) | instid1(VALU_DEP_3)
	v_mul_lo_u32 v11, v11, v11
	v_add_nc_u32_e32 v14, v12, v6
	v_sub_nc_u32_e32 v13, v13, v5
	s_delay_alu instid0(VALU_DEP_1) | instskip(NEXT) | instid1(VALU_DEP_3)
	v_add_nc_u32_e32 v15, v13, v6
	v_mad_u64_u32 v[12:13], null, v14, v14, v[10:11]
	s_delay_alu instid0(VALU_DEP_1) | instskip(NEXT) | instid1(VALU_DEP_1)
	v_mad_u64_u32 v[13:14], null, v15, v15, v[11:12]
	v_cmp_lt_u32_e32 vcc_lo, v12, v13
	v_cndmask_b32_e32 v5, v5, v9, vcc_lo
.LBB0_24:
	s_or_b32 exec_lo, exec_lo, s33
.LBB0_25:
	s_delay_alu instid0(SALU_CYCLE_1)
	s_or_b32 exec_lo, exec_lo, s34
.LBB0_26:
	s_delay_alu instid0(SALU_CYCLE_1) | instskip(NEXT) | instid1(SALU_CYCLE_1)
	s_or_b32 exec_lo, exec_lo, s15
	s_mov_b32 s15, exec_lo
	v_cmpx_le_i32_e64 s6, v7
	s_cbranch_execz .LBB0_30
; %bb.27:
	v_add_co_u32 v9, vcc_lo, s24, v3
	v_add_co_ci_u32_e32 v10, vcc_lo, s25, v4, vcc_lo
	s_mul_i32 s2, s5, s4
	s_mov_b32 s33, exec_lo
	global_load_b32 v9, v[9:10], off
	s_waitcnt vmcnt(0)
	v_cmpx_ne_u32_e64 s2, v9
	s_cbranch_execz .LBB0_29
; %bb.28:
	v_sub_nc_u32_e32 v10, 0, v9
	v_sub_nc_u32_e32 v11, 0, v5
	v_ashrrev_i32_e32 v16, 31, v9
	v_ashrrev_i32_e32 v17, 31, v5
	s_delay_alu instid0(VALU_DEP_4) | instskip(NEXT) | instid1(VALU_DEP_4)
	v_max_i32_e32 v10, v9, v10
	v_max_i32_e32 v11, v5, v11
	s_delay_alu instid0(VALU_DEP_3) | instskip(NEXT) | instid1(VALU_DEP_3)
	v_xor_b32_e32 v17, s14, v17
	v_mul_hi_u32 v12, v10, v8
	s_delay_alu instid0(VALU_DEP_3) | instskip(NEXT) | instid1(VALU_DEP_2)
	v_mul_hi_u32 v13, v11, v8
	v_mul_lo_u32 v14, v12, s11
	s_delay_alu instid0(VALU_DEP_2) | instskip(NEXT) | instid1(VALU_DEP_2)
	v_mul_lo_u32 v15, v13, s11
	v_sub_nc_u32_e32 v10, v10, v14
	s_delay_alu instid0(VALU_DEP_2) | instskip(SKIP_1) | instid1(VALU_DEP_3)
	v_sub_nc_u32_e32 v11, v11, v15
	v_add_nc_u32_e32 v14, 1, v12
	v_cmp_le_u32_e32 vcc_lo, s11, v10
	v_add_nc_u32_e32 v15, 1, v13
	s_delay_alu instid0(VALU_DEP_4) | instskip(SKIP_3) | instid1(VALU_DEP_4)
	v_cmp_le_u32_e64 s2, s11, v11
	v_subrev_nc_u32_e32 v18, s11, v11
	v_cndmask_b32_e32 v12, v12, v14, vcc_lo
	v_subrev_nc_u32_e32 v14, s11, v10
	v_cndmask_b32_e64 v13, v13, v15, s2
	v_xor_b32_e32 v15, s14, v16
	v_cndmask_b32_e64 v11, v11, v18, s2
	s_delay_alu instid0(VALU_DEP_3) | instskip(SKIP_2) | instid1(VALU_DEP_2)
	v_add_nc_u32_e32 v16, 1, v13
	v_cndmask_b32_e32 v10, v10, v14, vcc_lo
	v_add_nc_u32_e32 v14, 1, v12
	v_cmp_le_u32_e32 vcc_lo, s11, v10
	s_delay_alu instid0(VALU_DEP_2) | instskip(SKIP_1) | instid1(VALU_DEP_2)
	v_cndmask_b32_e32 v10, v12, v14, vcc_lo
	v_cmp_le_u32_e32 vcc_lo, s11, v11
	v_xor_b32_e32 v10, v10, v15
	v_cndmask_b32_e32 v11, v13, v16, vcc_lo
	s_delay_alu instid0(VALU_DEP_2) | instskip(NEXT) | instid1(VALU_DEP_2)
	v_sub_nc_u32_e32 v10, v10, v15
	v_xor_b32_e32 v11, v11, v17
	s_delay_alu instid0(VALU_DEP_2) | instskip(NEXT) | instid1(VALU_DEP_2)
	v_mul_lo_u32 v12, v10, s4
	v_sub_nc_u32_e32 v11, v11, v17
	v_sub_nc_u32_e32 v10, v7, v10
	s_delay_alu instid0(VALU_DEP_2) | instskip(SKIP_2) | instid1(VALU_DEP_4)
	v_mul_lo_u32 v13, v11, s4
	v_sub_nc_u32_e32 v11, v7, v11
	v_sub_nc_u32_e32 v12, v12, v9
	v_mul_lo_u32 v10, v10, v10
	s_delay_alu instid0(VALU_DEP_3) | instskip(NEXT) | instid1(VALU_DEP_3)
	v_mul_lo_u32 v11, v11, v11
	v_add_nc_u32_e32 v14, v12, v6
	v_sub_nc_u32_e32 v13, v13, v5
	s_delay_alu instid0(VALU_DEP_1) | instskip(NEXT) | instid1(VALU_DEP_3)
	v_add_nc_u32_e32 v15, v13, v6
	v_mad_u64_u32 v[12:13], null, v14, v14, v[10:11]
	s_delay_alu instid0(VALU_DEP_1) | instskip(NEXT) | instid1(VALU_DEP_1)
	v_mad_u64_u32 v[13:14], null, v15, v15, v[11:12]
	v_cmp_lt_u32_e32 vcc_lo, v12, v13
	v_cndmask_b32_e32 v5, v5, v9, vcc_lo
.LBB0_29:
	s_or_b32 exec_lo, exec_lo, s33
.LBB0_30:
	s_delay_alu instid0(SALU_CYCLE_1) | instskip(SKIP_2) | instid1(VALU_DEP_1)
	s_or_b32 exec_lo, exec_lo, s15
	v_add_nc_u32_e32 v9, s6, v7
	s_mov_b32 s15, exec_lo
	v_cmpx_gt_i32_e64 s5, v9
	s_cbranch_execz .LBB0_34
; %bb.31:
	v_add_co_u32 v3, vcc_lo, s20, v3
	v_add_co_ci_u32_e32 v4, vcc_lo, s21, v4, vcc_lo
	s_mul_i32 s2, s5, s4
	s_mov_b32 s33, exec_lo
	global_load_b32 v3, v[3:4], off
	s_waitcnt vmcnt(0)
	v_cmpx_ne_u32_e64 s2, v3
	s_cbranch_execz .LBB0_33
; %bb.32:
	v_sub_nc_u32_e32 v4, 0, v3
	v_sub_nc_u32_e32 v9, 0, v5
	v_ashrrev_i32_e32 v13, 31, v3
	v_ashrrev_i32_e32 v14, 31, v5
	s_delay_alu instid0(VALU_DEP_4) | instskip(NEXT) | instid1(VALU_DEP_4)
	v_max_i32_e32 v4, v3, v4
	v_max_i32_e32 v9, v5, v9
	s_delay_alu instid0(VALU_DEP_3) | instskip(NEXT) | instid1(VALU_DEP_3)
	v_xor_b32_e32 v14, s14, v14
	v_mul_hi_u32 v10, v4, v8
	s_delay_alu instid0(VALU_DEP_3) | instskip(NEXT) | instid1(VALU_DEP_2)
	v_mul_hi_u32 v8, v9, v8
	v_mul_lo_u32 v11, v10, s11
	s_delay_alu instid0(VALU_DEP_2) | instskip(NEXT) | instid1(VALU_DEP_2)
	v_mul_lo_u32 v12, v8, s11
	v_sub_nc_u32_e32 v4, v4, v11
	s_delay_alu instid0(VALU_DEP_2) | instskip(SKIP_1) | instid1(VALU_DEP_3)
	v_sub_nc_u32_e32 v9, v9, v12
	v_add_nc_u32_e32 v12, 1, v8
	v_cmp_le_u32_e32 vcc_lo, s11, v4
	s_delay_alu instid0(VALU_DEP_3) | instskip(SKIP_1) | instid1(VALU_DEP_2)
	v_cmp_le_u32_e64 s2, s11, v9
	v_subrev_nc_u32_e32 v15, s11, v9
	v_cndmask_b32_e64 v8, v8, v12, s2
	v_xor_b32_e32 v12, s14, v13
	s_delay_alu instid0(VALU_DEP_3) | instskip(NEXT) | instid1(VALU_DEP_3)
	v_cndmask_b32_e64 v9, v9, v15, s2
	v_add_nc_u32_e32 v13, 1, v8
	v_add_nc_u32_e32 v11, 1, v10
	s_delay_alu instid0(VALU_DEP_1) | instskip(SKIP_1) | instid1(VALU_DEP_1)
	v_cndmask_b32_e32 v10, v10, v11, vcc_lo
	v_subrev_nc_u32_e32 v11, s11, v4
	v_dual_cndmask_b32 v4, v4, v11 :: v_dual_add_nc_u32 v11, 1, v10
	s_delay_alu instid0(VALU_DEP_1) | instskip(NEXT) | instid1(VALU_DEP_2)
	v_cmp_le_u32_e32 vcc_lo, s11, v4
	v_cndmask_b32_e32 v4, v10, v11, vcc_lo
	v_cmp_le_u32_e32 vcc_lo, s11, v9
	s_delay_alu instid0(VALU_DEP_2) | instskip(SKIP_1) | instid1(VALU_DEP_2)
	v_xor_b32_e32 v4, v4, v12
	v_cndmask_b32_e32 v8, v8, v13, vcc_lo
	v_sub_nc_u32_e32 v4, v4, v12
	s_delay_alu instid0(VALU_DEP_2) | instskip(NEXT) | instid1(VALU_DEP_2)
	v_xor_b32_e32 v8, v8, v14
	v_mul_lo_u32 v9, v4, s4
	s_delay_alu instid0(VALU_DEP_2) | instskip(SKIP_1) | instid1(VALU_DEP_2)
	v_sub_nc_u32_e32 v8, v8, v14
	v_sub_nc_u32_e32 v4, v7, v4
	v_mul_lo_u32 v10, v8, s4
	v_sub_nc_u32_e32 v7, v7, v8
	v_sub_nc_u32_e32 v8, v9, v3
	s_delay_alu instid0(VALU_DEP_4) | instskip(NEXT) | instid1(VALU_DEP_3)
	v_mul_lo_u32 v4, v4, v4
	v_mul_lo_u32 v7, v7, v7
	v_sub_nc_u32_e32 v9, v10, v5
	s_delay_alu instid0(VALU_DEP_4) | instskip(NEXT) | instid1(VALU_DEP_2)
	v_add_nc_u32_e32 v10, v8, v6
	v_add_nc_u32_e32 v6, v9, v6
	s_delay_alu instid0(VALU_DEP_2) | instskip(NEXT) | instid1(VALU_DEP_1)
	v_mad_u64_u32 v[8:9], null, v10, v10, v[4:5]
	v_mad_u64_u32 v[9:10], null, v6, v6, v[7:8]
	s_delay_alu instid0(VALU_DEP_1)
	v_cmp_lt_u32_e32 vcc_lo, v8, v9
	v_cndmask_b32_e32 v5, v5, v3, vcc_lo
.LBB0_33:
	s_or_b32 exec_lo, exec_lo, s33
.LBB0_34:
	s_delay_alu instid0(SALU_CYCLE_1) | instskip(NEXT) | instid1(SALU_CYCLE_1)
	s_or_b32 exec_lo, exec_lo, s15
	s_mov_b32 s2, exec_lo
	s_or_b32 exec_lo, exec_lo, s9
	s_delay_alu instid0(SALU_CYCLE_1)
	s_and_b32 vcc_lo, exec_lo, s8
	s_cbranch_vccnz .LBB0_37
	s_branch .LBB0_70
.LBB0_35:
                                        ; implicit-def: $vgpr5
                                        ; implicit-def: $vgpr1_vgpr2
	s_cbranch_execnz .LBB0_37
	s_branch .LBB0_70
.LBB0_36:
	s_or_b32 exec_lo, exec_lo, s9
	s_delay_alu instid0(SALU_CYCLE_1)
	s_and_b32 vcc_lo, exec_lo, s8
	s_cbranch_vccz .LBB0_70
.LBB0_37:
	v_add_co_u32 v1, s2, s7, v0
	s_delay_alu instid0(VALU_DEP_1) | instskip(SKIP_1) | instid1(VALU_DEP_2)
	v_add_co_ci_u32_e64 v2, null, s10, 0, s2
	s_abs_i32 s7, s4
	v_add_nc_u32_e32 v8, s3, v1
	v_cvt_f32_u32_e32 v0, s7
	s_delay_alu instid0(VALU_DEP_3)
	v_lshlrev_b64 v[3:4], 2, v[1:2]
	s_sub_i32 s2, 0, s7
	s_ashr_i32 s3, s4, 31
	v_sub_nc_u32_e32 v7, 0, v8
	v_rcp_iflag_f32_e32 v0, v0
	s_mul_i32 s8, s5, s4
	s_waitcnt vmcnt(0)
	v_add_co_u32 v5, vcc_lo, s16, v3
	v_add_co_ci_u32_e32 v6, vcc_lo, s17, v4, vcc_lo
	v_max_i32_e32 v9, v8, v7
	s_mov_b32 s9, exec_lo
	global_load_b32 v5, v[5:6], off
	v_mul_f32_e32 v0, 0x4f7ffffe, v0
	s_delay_alu instid0(VALU_DEP_1) | instskip(NEXT) | instid1(VALU_DEP_1)
	v_cvt_u32_f32_e32 v0, v0
	v_mul_lo_u32 v6, s2, v0
	s_delay_alu instid0(VALU_DEP_1) | instskip(NEXT) | instid1(VALU_DEP_1)
	v_mul_hi_u32 v6, v0, v6
	v_add_nc_u32_e32 v7, v0, v6
	s_delay_alu instid0(VALU_DEP_1) | instskip(NEXT) | instid1(VALU_DEP_1)
	v_mul_hi_u32 v0, v9, v7
	v_mul_lo_u32 v6, v0, s7
	s_delay_alu instid0(VALU_DEP_1) | instskip(NEXT) | instid1(VALU_DEP_1)
	v_sub_nc_u32_e32 v6, v9, v6
	v_subrev_nc_u32_e32 v10, s7, v6
	v_cmp_le_u32_e32 vcc_lo, s7, v6
	s_delay_alu instid0(VALU_DEP_2) | instskip(NEXT) | instid1(VALU_DEP_1)
	v_dual_cndmask_b32 v6, v6, v10 :: v_dual_add_nc_u32 v9, 1, v0
	v_cndmask_b32_e32 v0, v0, v9, vcc_lo
	v_ashrrev_i32_e32 v9, 31, v8
	s_delay_alu instid0(VALU_DEP_3) | instskip(NEXT) | instid1(VALU_DEP_3)
	v_cmp_le_u32_e32 vcc_lo, s7, v6
	v_add_nc_u32_e32 v10, 1, v0
	s_delay_alu instid0(VALU_DEP_3) | instskip(NEXT) | instid1(VALU_DEP_2)
	v_xor_b32_e32 v9, s3, v9
	v_cndmask_b32_e32 v0, v0, v10, vcc_lo
	s_delay_alu instid0(VALU_DEP_1) | instskip(NEXT) | instid1(VALU_DEP_1)
	v_xor_b32_e32 v0, v0, v9
	v_sub_nc_u32_e32 v6, v0, v9
	s_delay_alu instid0(VALU_DEP_1) | instskip(NEXT) | instid1(VALU_DEP_1)
	v_mul_lo_u32 v0, v6, s4
	v_sub_nc_u32_e32 v0, v8, v0
	s_delay_alu instid0(VALU_DEP_1)
	v_cmpx_le_i32_e64 s6, v0
	s_cbranch_execz .LBB0_49
; %bb.38:
	v_add_co_u32 v8, vcc_lo, s22, v3
	v_add_co_ci_u32_e32 v9, vcc_lo, s23, v4, vcc_lo
	s_mov_b32 s10, exec_lo
	global_load_b32 v8, v[8:9], off
	s_waitcnt vmcnt(0)
	v_cmpx_ne_u32_e64 s8, v8
	s_cbranch_execz .LBB0_40
; %bb.39:
	v_sub_nc_u32_e32 v9, 0, v8
	v_sub_nc_u32_e32 v10, 0, v5
	v_ashrrev_i32_e32 v15, 31, v8
	v_ashrrev_i32_e32 v16, 31, v5
	s_delay_alu instid0(VALU_DEP_4) | instskip(NEXT) | instid1(VALU_DEP_4)
	v_max_i32_e32 v9, v8, v9
	v_max_i32_e32 v10, v5, v10
	s_delay_alu instid0(VALU_DEP_3) | instskip(NEXT) | instid1(VALU_DEP_3)
	v_xor_b32_e32 v16, s3, v16
	v_mul_hi_u32 v11, v9, v7
	s_delay_alu instid0(VALU_DEP_3) | instskip(NEXT) | instid1(VALU_DEP_2)
	v_mul_hi_u32 v12, v10, v7
	v_mul_lo_u32 v13, v11, s7
	s_delay_alu instid0(VALU_DEP_2) | instskip(NEXT) | instid1(VALU_DEP_2)
	v_mul_lo_u32 v14, v12, s7
	v_sub_nc_u32_e32 v9, v9, v13
	s_delay_alu instid0(VALU_DEP_2) | instskip(SKIP_1) | instid1(VALU_DEP_3)
	v_sub_nc_u32_e32 v10, v10, v14
	v_add_nc_u32_e32 v13, 1, v11
	v_cmp_le_u32_e32 vcc_lo, s7, v9
	v_add_nc_u32_e32 v14, 1, v12
	s_delay_alu instid0(VALU_DEP_4) | instskip(SKIP_3) | instid1(VALU_DEP_4)
	v_cmp_le_u32_e64 s2, s7, v10
	v_subrev_nc_u32_e32 v17, s7, v10
	v_cndmask_b32_e32 v11, v11, v13, vcc_lo
	v_subrev_nc_u32_e32 v13, s7, v9
	v_cndmask_b32_e64 v12, v12, v14, s2
	v_xor_b32_e32 v14, s3, v15
	v_cndmask_b32_e64 v10, v10, v17, s2
	s_delay_alu instid0(VALU_DEP_3) | instskip(SKIP_2) | instid1(VALU_DEP_2)
	v_add_nc_u32_e32 v15, 1, v12
	v_cndmask_b32_e32 v9, v9, v13, vcc_lo
	v_add_nc_u32_e32 v13, 1, v11
	v_cmp_le_u32_e32 vcc_lo, s7, v9
	s_delay_alu instid0(VALU_DEP_2) | instskip(SKIP_1) | instid1(VALU_DEP_2)
	v_cndmask_b32_e32 v9, v11, v13, vcc_lo
	v_cmp_le_u32_e32 vcc_lo, s7, v10
	v_xor_b32_e32 v9, v9, v14
	v_cndmask_b32_e32 v10, v12, v15, vcc_lo
	s_delay_alu instid0(VALU_DEP_2) | instskip(NEXT) | instid1(VALU_DEP_2)
	v_sub_nc_u32_e32 v9, v9, v14
	v_xor_b32_e32 v10, v10, v16
	s_delay_alu instid0(VALU_DEP_2) | instskip(NEXT) | instid1(VALU_DEP_2)
	v_mul_lo_u32 v11, v9, s4
	v_sub_nc_u32_e32 v10, v10, v16
	v_sub_nc_u32_e32 v9, v6, v9
	s_delay_alu instid0(VALU_DEP_2) | instskip(SKIP_2) | instid1(VALU_DEP_4)
	v_mul_lo_u32 v12, v10, s4
	v_sub_nc_u32_e32 v10, v6, v10
	v_sub_nc_u32_e32 v11, v11, v8
	v_mul_lo_u32 v9, v9, v9
	s_delay_alu instid0(VALU_DEP_3) | instskip(NEXT) | instid1(VALU_DEP_3)
	v_mul_lo_u32 v10, v10, v10
	v_add_nc_u32_e32 v13, v11, v0
	v_sub_nc_u32_e32 v12, v12, v5
	s_delay_alu instid0(VALU_DEP_1) | instskip(NEXT) | instid1(VALU_DEP_3)
	v_add_nc_u32_e32 v14, v12, v0
	v_mad_u64_u32 v[11:12], null, v13, v13, v[9:10]
	s_delay_alu instid0(VALU_DEP_1) | instskip(NEXT) | instid1(VALU_DEP_1)
	v_mad_u64_u32 v[12:13], null, v14, v14, v[10:11]
	v_cmp_lt_u32_e32 vcc_lo, v11, v12
	v_cndmask_b32_e32 v5, v5, v8, vcc_lo
.LBB0_40:
	s_or_b32 exec_lo, exec_lo, s10
	s_delay_alu instid0(SALU_CYCLE_1)
	s_mov_b32 s10, exec_lo
	v_cmpx_le_i32_e64 s6, v6
	s_cbranch_execz .LBB0_44
; %bb.41:
	v_add_co_u32 v8, vcc_lo, s12, v3
	v_add_co_ci_u32_e32 v9, vcc_lo, s13, v4, vcc_lo
	s_mov_b32 s11, exec_lo
	global_load_b32 v8, v[8:9], off
	s_waitcnt vmcnt(0)
	v_cmpx_ne_u32_e64 s8, v8
	s_cbranch_execz .LBB0_43
; %bb.42:
	v_sub_nc_u32_e32 v9, 0, v8
	v_sub_nc_u32_e32 v10, 0, v5
	v_ashrrev_i32_e32 v15, 31, v8
	v_ashrrev_i32_e32 v16, 31, v5
	s_delay_alu instid0(VALU_DEP_4) | instskip(NEXT) | instid1(VALU_DEP_4)
	v_max_i32_e32 v9, v8, v9
	v_max_i32_e32 v10, v5, v10
	s_delay_alu instid0(VALU_DEP_3) | instskip(NEXT) | instid1(VALU_DEP_3)
	v_xor_b32_e32 v16, s3, v16
	v_mul_hi_u32 v11, v9, v7
	s_delay_alu instid0(VALU_DEP_3) | instskip(NEXT) | instid1(VALU_DEP_2)
	v_mul_hi_u32 v12, v10, v7
	v_mul_lo_u32 v13, v11, s7
	s_delay_alu instid0(VALU_DEP_2) | instskip(NEXT) | instid1(VALU_DEP_2)
	v_mul_lo_u32 v14, v12, s7
	v_sub_nc_u32_e32 v9, v9, v13
	s_delay_alu instid0(VALU_DEP_2) | instskip(SKIP_1) | instid1(VALU_DEP_3)
	v_sub_nc_u32_e32 v10, v10, v14
	v_add_nc_u32_e32 v13, 1, v11
	v_cmp_le_u32_e32 vcc_lo, s7, v9
	v_add_nc_u32_e32 v14, 1, v12
	s_delay_alu instid0(VALU_DEP_4) | instskip(SKIP_3) | instid1(VALU_DEP_4)
	v_cmp_le_u32_e64 s2, s7, v10
	v_subrev_nc_u32_e32 v17, s7, v10
	v_cndmask_b32_e32 v11, v11, v13, vcc_lo
	v_subrev_nc_u32_e32 v13, s7, v9
	v_cndmask_b32_e64 v12, v12, v14, s2
	v_xor_b32_e32 v14, s3, v15
	v_cndmask_b32_e64 v10, v10, v17, s2
	s_delay_alu instid0(VALU_DEP_3) | instskip(SKIP_2) | instid1(VALU_DEP_2)
	v_add_nc_u32_e32 v15, 1, v12
	v_cndmask_b32_e32 v9, v9, v13, vcc_lo
	v_add_nc_u32_e32 v13, 1, v11
	v_cmp_le_u32_e32 vcc_lo, s7, v9
	s_delay_alu instid0(VALU_DEP_2) | instskip(SKIP_1) | instid1(VALU_DEP_2)
	v_cndmask_b32_e32 v9, v11, v13, vcc_lo
	v_cmp_le_u32_e32 vcc_lo, s7, v10
	v_xor_b32_e32 v9, v9, v14
	v_cndmask_b32_e32 v10, v12, v15, vcc_lo
	s_delay_alu instid0(VALU_DEP_2) | instskip(NEXT) | instid1(VALU_DEP_2)
	v_sub_nc_u32_e32 v9, v9, v14
	v_xor_b32_e32 v10, v10, v16
	s_delay_alu instid0(VALU_DEP_2) | instskip(NEXT) | instid1(VALU_DEP_2)
	v_mul_lo_u32 v11, v9, s4
	v_sub_nc_u32_e32 v10, v10, v16
	v_sub_nc_u32_e32 v9, v6, v9
	s_delay_alu instid0(VALU_DEP_2) | instskip(SKIP_2) | instid1(VALU_DEP_4)
	v_mul_lo_u32 v12, v10, s4
	v_sub_nc_u32_e32 v10, v6, v10
	v_sub_nc_u32_e32 v11, v11, v8
	v_mul_lo_u32 v9, v9, v9
	s_delay_alu instid0(VALU_DEP_3) | instskip(NEXT) | instid1(VALU_DEP_3)
	v_mul_lo_u32 v10, v10, v10
	v_add_nc_u32_e32 v13, v11, v0
	v_sub_nc_u32_e32 v12, v12, v5
	s_delay_alu instid0(VALU_DEP_1) | instskip(NEXT) | instid1(VALU_DEP_3)
	v_add_nc_u32_e32 v14, v12, v0
	v_mad_u64_u32 v[11:12], null, v13, v13, v[9:10]
	s_delay_alu instid0(VALU_DEP_1) | instskip(NEXT) | instid1(VALU_DEP_1)
	v_mad_u64_u32 v[12:13], null, v14, v14, v[10:11]
	v_cmp_lt_u32_e32 vcc_lo, v11, v12
	v_cndmask_b32_e32 v5, v5, v8, vcc_lo
.LBB0_43:
	s_or_b32 exec_lo, exec_lo, s11
.LBB0_44:
	s_delay_alu instid0(SALU_CYCLE_1) | instskip(SKIP_2) | instid1(VALU_DEP_1)
	s_or_b32 exec_lo, exec_lo, s10
	v_add_nc_u32_e32 v8, s6, v6
	s_mov_b32 s10, exec_lo
	v_cmpx_gt_i32_e64 s5, v8
	s_cbranch_execz .LBB0_48
; %bb.45:
	v_add_co_u32 v8, vcc_lo, s30, v3
	v_add_co_ci_u32_e32 v9, vcc_lo, s31, v4, vcc_lo
	s_mov_b32 s11, exec_lo
	global_load_b32 v8, v[8:9], off
	s_waitcnt vmcnt(0)
	v_cmpx_ne_u32_e64 s8, v8
	s_cbranch_execz .LBB0_47
; %bb.46:
	v_sub_nc_u32_e32 v9, 0, v8
	v_sub_nc_u32_e32 v10, 0, v5
	v_ashrrev_i32_e32 v15, 31, v8
	v_ashrrev_i32_e32 v16, 31, v5
	s_delay_alu instid0(VALU_DEP_4) | instskip(NEXT) | instid1(VALU_DEP_4)
	v_max_i32_e32 v9, v8, v9
	v_max_i32_e32 v10, v5, v10
	s_delay_alu instid0(VALU_DEP_3) | instskip(NEXT) | instid1(VALU_DEP_3)
	v_xor_b32_e32 v16, s3, v16
	v_mul_hi_u32 v11, v9, v7
	s_delay_alu instid0(VALU_DEP_3) | instskip(NEXT) | instid1(VALU_DEP_2)
	v_mul_hi_u32 v12, v10, v7
	v_mul_lo_u32 v13, v11, s7
	s_delay_alu instid0(VALU_DEP_2) | instskip(NEXT) | instid1(VALU_DEP_2)
	v_mul_lo_u32 v14, v12, s7
	v_sub_nc_u32_e32 v9, v9, v13
	s_delay_alu instid0(VALU_DEP_2) | instskip(SKIP_1) | instid1(VALU_DEP_3)
	v_sub_nc_u32_e32 v10, v10, v14
	v_add_nc_u32_e32 v13, 1, v11
	v_cmp_le_u32_e32 vcc_lo, s7, v9
	v_add_nc_u32_e32 v14, 1, v12
	s_delay_alu instid0(VALU_DEP_4) | instskip(SKIP_3) | instid1(VALU_DEP_4)
	v_cmp_le_u32_e64 s2, s7, v10
	v_subrev_nc_u32_e32 v17, s7, v10
	v_cndmask_b32_e32 v11, v11, v13, vcc_lo
	v_subrev_nc_u32_e32 v13, s7, v9
	v_cndmask_b32_e64 v12, v12, v14, s2
	v_xor_b32_e32 v14, s3, v15
	v_cndmask_b32_e64 v10, v10, v17, s2
	s_delay_alu instid0(VALU_DEP_3) | instskip(SKIP_2) | instid1(VALU_DEP_2)
	v_add_nc_u32_e32 v15, 1, v12
	v_cndmask_b32_e32 v9, v9, v13, vcc_lo
	v_add_nc_u32_e32 v13, 1, v11
	v_cmp_le_u32_e32 vcc_lo, s7, v9
	s_delay_alu instid0(VALU_DEP_2) | instskip(SKIP_1) | instid1(VALU_DEP_2)
	v_cndmask_b32_e32 v9, v11, v13, vcc_lo
	v_cmp_le_u32_e32 vcc_lo, s7, v10
	v_xor_b32_e32 v9, v9, v14
	v_cndmask_b32_e32 v10, v12, v15, vcc_lo
	s_delay_alu instid0(VALU_DEP_2) | instskip(NEXT) | instid1(VALU_DEP_2)
	v_sub_nc_u32_e32 v9, v9, v14
	v_xor_b32_e32 v10, v10, v16
	s_delay_alu instid0(VALU_DEP_2) | instskip(NEXT) | instid1(VALU_DEP_2)
	v_mul_lo_u32 v11, v9, s4
	v_sub_nc_u32_e32 v10, v10, v16
	v_sub_nc_u32_e32 v9, v6, v9
	s_delay_alu instid0(VALU_DEP_2) | instskip(SKIP_2) | instid1(VALU_DEP_4)
	v_mul_lo_u32 v12, v10, s4
	v_sub_nc_u32_e32 v10, v6, v10
	v_sub_nc_u32_e32 v11, v11, v8
	v_mul_lo_u32 v9, v9, v9
	s_delay_alu instid0(VALU_DEP_3) | instskip(NEXT) | instid1(VALU_DEP_3)
	v_mul_lo_u32 v10, v10, v10
	v_add_nc_u32_e32 v13, v11, v0
	v_sub_nc_u32_e32 v12, v12, v5
	s_delay_alu instid0(VALU_DEP_1) | instskip(NEXT) | instid1(VALU_DEP_3)
	v_add_nc_u32_e32 v14, v12, v0
	v_mad_u64_u32 v[11:12], null, v13, v13, v[9:10]
	s_delay_alu instid0(VALU_DEP_1) | instskip(NEXT) | instid1(VALU_DEP_1)
	v_mad_u64_u32 v[12:13], null, v14, v14, v[10:11]
	v_cmp_lt_u32_e32 vcc_lo, v11, v12
	v_cndmask_b32_e32 v5, v5, v8, vcc_lo
.LBB0_47:
	s_or_b32 exec_lo, exec_lo, s11
.LBB0_48:
	s_delay_alu instid0(SALU_CYCLE_1)
	s_or_b32 exec_lo, exec_lo, s10
.LBB0_49:
	s_delay_alu instid0(SALU_CYCLE_1) | instskip(SKIP_2) | instid1(VALU_DEP_1)
	s_or_b32 exec_lo, exec_lo, s9
	v_add_nc_u32_e32 v8, s6, v0
	s_mov_b32 s9, exec_lo
	v_cmpx_gt_i32_e64 s4, v8
	s_cbranch_execz .LBB0_61
; %bb.50:
	v_add_co_u32 v8, vcc_lo, s18, v3
	v_add_co_ci_u32_e32 v9, vcc_lo, s19, v4, vcc_lo
	s_mov_b32 s10, exec_lo
	global_load_b32 v8, v[8:9], off
	s_waitcnt vmcnt(0)
	v_cmpx_ne_u32_e64 s8, v8
	s_cbranch_execz .LBB0_52
; %bb.51:
	v_sub_nc_u32_e32 v9, 0, v8
	v_sub_nc_u32_e32 v10, 0, v5
	v_ashrrev_i32_e32 v15, 31, v8
	v_ashrrev_i32_e32 v16, 31, v5
	s_delay_alu instid0(VALU_DEP_4) | instskip(NEXT) | instid1(VALU_DEP_4)
	v_max_i32_e32 v9, v8, v9
	v_max_i32_e32 v10, v5, v10
	s_delay_alu instid0(VALU_DEP_3) | instskip(NEXT) | instid1(VALU_DEP_3)
	v_xor_b32_e32 v16, s3, v16
	v_mul_hi_u32 v11, v9, v7
	s_delay_alu instid0(VALU_DEP_3) | instskip(NEXT) | instid1(VALU_DEP_2)
	v_mul_hi_u32 v12, v10, v7
	v_mul_lo_u32 v13, v11, s7
	s_delay_alu instid0(VALU_DEP_2) | instskip(NEXT) | instid1(VALU_DEP_2)
	v_mul_lo_u32 v14, v12, s7
	v_sub_nc_u32_e32 v9, v9, v13
	s_delay_alu instid0(VALU_DEP_2) | instskip(SKIP_1) | instid1(VALU_DEP_3)
	v_sub_nc_u32_e32 v10, v10, v14
	v_add_nc_u32_e32 v13, 1, v11
	v_cmp_le_u32_e32 vcc_lo, s7, v9
	v_add_nc_u32_e32 v14, 1, v12
	s_delay_alu instid0(VALU_DEP_4) | instskip(SKIP_3) | instid1(VALU_DEP_4)
	v_cmp_le_u32_e64 s2, s7, v10
	v_subrev_nc_u32_e32 v17, s7, v10
	v_cndmask_b32_e32 v11, v11, v13, vcc_lo
	v_subrev_nc_u32_e32 v13, s7, v9
	v_cndmask_b32_e64 v12, v12, v14, s2
	v_xor_b32_e32 v14, s3, v15
	v_cndmask_b32_e64 v10, v10, v17, s2
	s_delay_alu instid0(VALU_DEP_3) | instskip(SKIP_2) | instid1(VALU_DEP_2)
	v_add_nc_u32_e32 v15, 1, v12
	v_cndmask_b32_e32 v9, v9, v13, vcc_lo
	v_add_nc_u32_e32 v13, 1, v11
	v_cmp_le_u32_e32 vcc_lo, s7, v9
	s_delay_alu instid0(VALU_DEP_2) | instskip(SKIP_1) | instid1(VALU_DEP_2)
	v_cndmask_b32_e32 v9, v11, v13, vcc_lo
	v_cmp_le_u32_e32 vcc_lo, s7, v10
	v_xor_b32_e32 v9, v9, v14
	v_cndmask_b32_e32 v10, v12, v15, vcc_lo
	s_delay_alu instid0(VALU_DEP_2) | instskip(NEXT) | instid1(VALU_DEP_2)
	v_sub_nc_u32_e32 v9, v9, v14
	v_xor_b32_e32 v10, v10, v16
	s_delay_alu instid0(VALU_DEP_2) | instskip(NEXT) | instid1(VALU_DEP_2)
	v_mul_lo_u32 v11, v9, s4
	v_sub_nc_u32_e32 v10, v10, v16
	v_sub_nc_u32_e32 v9, v6, v9
	s_delay_alu instid0(VALU_DEP_2) | instskip(SKIP_2) | instid1(VALU_DEP_4)
	v_mul_lo_u32 v12, v10, s4
	v_sub_nc_u32_e32 v10, v6, v10
	v_sub_nc_u32_e32 v11, v11, v8
	v_mul_lo_u32 v9, v9, v9
	s_delay_alu instid0(VALU_DEP_3) | instskip(NEXT) | instid1(VALU_DEP_3)
	v_mul_lo_u32 v10, v10, v10
	v_add_nc_u32_e32 v13, v11, v0
	v_sub_nc_u32_e32 v12, v12, v5
	s_delay_alu instid0(VALU_DEP_1) | instskip(NEXT) | instid1(VALU_DEP_3)
	v_add_nc_u32_e32 v14, v12, v0
	v_mad_u64_u32 v[11:12], null, v13, v13, v[9:10]
	s_delay_alu instid0(VALU_DEP_1) | instskip(NEXT) | instid1(VALU_DEP_1)
	v_mad_u64_u32 v[12:13], null, v14, v14, v[10:11]
	v_cmp_lt_u32_e32 vcc_lo, v11, v12
	v_cndmask_b32_e32 v5, v5, v8, vcc_lo
.LBB0_52:
	s_or_b32 exec_lo, exec_lo, s10
	s_delay_alu instid0(SALU_CYCLE_1)
	s_mov_b32 s10, exec_lo
	v_cmpx_le_i32_e64 s6, v6
	s_cbranch_execz .LBB0_56
; %bb.53:
	v_add_co_u32 v8, vcc_lo, s28, v3
	v_add_co_ci_u32_e32 v9, vcc_lo, s29, v4, vcc_lo
	s_mov_b32 s11, exec_lo
	global_load_b32 v8, v[8:9], off
	s_waitcnt vmcnt(0)
	v_cmpx_ne_u32_e64 s8, v8
	s_cbranch_execz .LBB0_55
; %bb.54:
	v_sub_nc_u32_e32 v9, 0, v8
	v_sub_nc_u32_e32 v10, 0, v5
	v_ashrrev_i32_e32 v15, 31, v8
	v_ashrrev_i32_e32 v16, 31, v5
	s_delay_alu instid0(VALU_DEP_4) | instskip(NEXT) | instid1(VALU_DEP_4)
	v_max_i32_e32 v9, v8, v9
	v_max_i32_e32 v10, v5, v10
	s_delay_alu instid0(VALU_DEP_3) | instskip(NEXT) | instid1(VALU_DEP_3)
	v_xor_b32_e32 v16, s3, v16
	v_mul_hi_u32 v11, v9, v7
	s_delay_alu instid0(VALU_DEP_3) | instskip(NEXT) | instid1(VALU_DEP_2)
	v_mul_hi_u32 v12, v10, v7
	v_mul_lo_u32 v13, v11, s7
	s_delay_alu instid0(VALU_DEP_2) | instskip(NEXT) | instid1(VALU_DEP_2)
	v_mul_lo_u32 v14, v12, s7
	v_sub_nc_u32_e32 v9, v9, v13
	s_delay_alu instid0(VALU_DEP_2) | instskip(SKIP_1) | instid1(VALU_DEP_3)
	v_sub_nc_u32_e32 v10, v10, v14
	v_add_nc_u32_e32 v13, 1, v11
	v_cmp_le_u32_e32 vcc_lo, s7, v9
	v_add_nc_u32_e32 v14, 1, v12
	s_delay_alu instid0(VALU_DEP_4) | instskip(SKIP_3) | instid1(VALU_DEP_4)
	v_cmp_le_u32_e64 s2, s7, v10
	v_subrev_nc_u32_e32 v17, s7, v10
	v_cndmask_b32_e32 v11, v11, v13, vcc_lo
	v_subrev_nc_u32_e32 v13, s7, v9
	v_cndmask_b32_e64 v12, v12, v14, s2
	v_xor_b32_e32 v14, s3, v15
	v_cndmask_b32_e64 v10, v10, v17, s2
	s_delay_alu instid0(VALU_DEP_3) | instskip(SKIP_2) | instid1(VALU_DEP_2)
	v_add_nc_u32_e32 v15, 1, v12
	v_cndmask_b32_e32 v9, v9, v13, vcc_lo
	v_add_nc_u32_e32 v13, 1, v11
	v_cmp_le_u32_e32 vcc_lo, s7, v9
	s_delay_alu instid0(VALU_DEP_2) | instskip(SKIP_1) | instid1(VALU_DEP_2)
	v_cndmask_b32_e32 v9, v11, v13, vcc_lo
	v_cmp_le_u32_e32 vcc_lo, s7, v10
	v_xor_b32_e32 v9, v9, v14
	v_cndmask_b32_e32 v10, v12, v15, vcc_lo
	s_delay_alu instid0(VALU_DEP_2) | instskip(NEXT) | instid1(VALU_DEP_2)
	v_sub_nc_u32_e32 v9, v9, v14
	v_xor_b32_e32 v10, v10, v16
	s_delay_alu instid0(VALU_DEP_2) | instskip(NEXT) | instid1(VALU_DEP_2)
	v_mul_lo_u32 v11, v9, s4
	v_sub_nc_u32_e32 v10, v10, v16
	v_sub_nc_u32_e32 v9, v6, v9
	s_delay_alu instid0(VALU_DEP_2) | instskip(SKIP_2) | instid1(VALU_DEP_4)
	v_mul_lo_u32 v12, v10, s4
	v_sub_nc_u32_e32 v10, v6, v10
	v_sub_nc_u32_e32 v11, v11, v8
	v_mul_lo_u32 v9, v9, v9
	s_delay_alu instid0(VALU_DEP_3) | instskip(NEXT) | instid1(VALU_DEP_3)
	v_mul_lo_u32 v10, v10, v10
	v_add_nc_u32_e32 v13, v11, v0
	v_sub_nc_u32_e32 v12, v12, v5
	s_delay_alu instid0(VALU_DEP_1) | instskip(NEXT) | instid1(VALU_DEP_3)
	v_add_nc_u32_e32 v14, v12, v0
	v_mad_u64_u32 v[11:12], null, v13, v13, v[9:10]
	s_delay_alu instid0(VALU_DEP_1) | instskip(NEXT) | instid1(VALU_DEP_1)
	v_mad_u64_u32 v[12:13], null, v14, v14, v[10:11]
	v_cmp_lt_u32_e32 vcc_lo, v11, v12
	v_cndmask_b32_e32 v5, v5, v8, vcc_lo
.LBB0_55:
	s_or_b32 exec_lo, exec_lo, s11
.LBB0_56:
	s_delay_alu instid0(SALU_CYCLE_1) | instskip(SKIP_2) | instid1(VALU_DEP_1)
	s_or_b32 exec_lo, exec_lo, s10
	v_add_nc_u32_e32 v8, s6, v6
	s_mov_b32 s10, exec_lo
	v_cmpx_gt_i32_e64 s5, v8
	s_cbranch_execz .LBB0_60
; %bb.57:
	v_add_co_u32 v8, vcc_lo, s26, v3
	v_add_co_ci_u32_e32 v9, vcc_lo, s27, v4, vcc_lo
	s_mov_b32 s11, exec_lo
	global_load_b32 v8, v[8:9], off
	s_waitcnt vmcnt(0)
	v_cmpx_ne_u32_e64 s8, v8
	s_cbranch_execz .LBB0_59
; %bb.58:
	v_sub_nc_u32_e32 v9, 0, v8
	v_sub_nc_u32_e32 v10, 0, v5
	v_ashrrev_i32_e32 v15, 31, v8
	v_ashrrev_i32_e32 v16, 31, v5
	s_delay_alu instid0(VALU_DEP_4) | instskip(NEXT) | instid1(VALU_DEP_4)
	v_max_i32_e32 v9, v8, v9
	v_max_i32_e32 v10, v5, v10
	s_delay_alu instid0(VALU_DEP_3) | instskip(NEXT) | instid1(VALU_DEP_3)
	v_xor_b32_e32 v16, s3, v16
	v_mul_hi_u32 v11, v9, v7
	s_delay_alu instid0(VALU_DEP_3) | instskip(NEXT) | instid1(VALU_DEP_2)
	v_mul_hi_u32 v12, v10, v7
	v_mul_lo_u32 v13, v11, s7
	s_delay_alu instid0(VALU_DEP_2) | instskip(NEXT) | instid1(VALU_DEP_2)
	v_mul_lo_u32 v14, v12, s7
	v_sub_nc_u32_e32 v9, v9, v13
	s_delay_alu instid0(VALU_DEP_2) | instskip(SKIP_1) | instid1(VALU_DEP_3)
	v_sub_nc_u32_e32 v10, v10, v14
	v_add_nc_u32_e32 v13, 1, v11
	v_cmp_le_u32_e32 vcc_lo, s7, v9
	v_add_nc_u32_e32 v14, 1, v12
	s_delay_alu instid0(VALU_DEP_4) | instskip(SKIP_3) | instid1(VALU_DEP_4)
	v_cmp_le_u32_e64 s2, s7, v10
	v_subrev_nc_u32_e32 v17, s7, v10
	v_cndmask_b32_e32 v11, v11, v13, vcc_lo
	v_subrev_nc_u32_e32 v13, s7, v9
	v_cndmask_b32_e64 v12, v12, v14, s2
	v_xor_b32_e32 v14, s3, v15
	v_cndmask_b32_e64 v10, v10, v17, s2
	s_delay_alu instid0(VALU_DEP_3) | instskip(SKIP_2) | instid1(VALU_DEP_2)
	v_add_nc_u32_e32 v15, 1, v12
	v_cndmask_b32_e32 v9, v9, v13, vcc_lo
	v_add_nc_u32_e32 v13, 1, v11
	v_cmp_le_u32_e32 vcc_lo, s7, v9
	s_delay_alu instid0(VALU_DEP_2) | instskip(SKIP_1) | instid1(VALU_DEP_2)
	v_cndmask_b32_e32 v9, v11, v13, vcc_lo
	v_cmp_le_u32_e32 vcc_lo, s7, v10
	v_xor_b32_e32 v9, v9, v14
	v_cndmask_b32_e32 v10, v12, v15, vcc_lo
	s_delay_alu instid0(VALU_DEP_2) | instskip(NEXT) | instid1(VALU_DEP_2)
	v_sub_nc_u32_e32 v9, v9, v14
	v_xor_b32_e32 v10, v10, v16
	s_delay_alu instid0(VALU_DEP_2) | instskip(NEXT) | instid1(VALU_DEP_2)
	v_mul_lo_u32 v11, v9, s4
	v_sub_nc_u32_e32 v10, v10, v16
	v_sub_nc_u32_e32 v9, v6, v9
	s_delay_alu instid0(VALU_DEP_2) | instskip(SKIP_2) | instid1(VALU_DEP_4)
	v_mul_lo_u32 v12, v10, s4
	v_sub_nc_u32_e32 v10, v6, v10
	v_sub_nc_u32_e32 v11, v11, v8
	v_mul_lo_u32 v9, v9, v9
	s_delay_alu instid0(VALU_DEP_3) | instskip(NEXT) | instid1(VALU_DEP_3)
	v_mul_lo_u32 v10, v10, v10
	v_add_nc_u32_e32 v13, v11, v0
	v_sub_nc_u32_e32 v12, v12, v5
	s_delay_alu instid0(VALU_DEP_1) | instskip(NEXT) | instid1(VALU_DEP_3)
	v_add_nc_u32_e32 v14, v12, v0
	v_mad_u64_u32 v[11:12], null, v13, v13, v[9:10]
	s_delay_alu instid0(VALU_DEP_1) | instskip(NEXT) | instid1(VALU_DEP_1)
	v_mad_u64_u32 v[12:13], null, v14, v14, v[10:11]
	v_cmp_lt_u32_e32 vcc_lo, v11, v12
	v_cndmask_b32_e32 v5, v5, v8, vcc_lo
.LBB0_59:
	s_or_b32 exec_lo, exec_lo, s11
.LBB0_60:
	s_delay_alu instid0(SALU_CYCLE_1)
	s_or_b32 exec_lo, exec_lo, s10
.LBB0_61:
	s_delay_alu instid0(SALU_CYCLE_1) | instskip(NEXT) | instid1(SALU_CYCLE_1)
	s_or_b32 exec_lo, exec_lo, s9
	s_mov_b32 s9, exec_lo
	v_cmpx_le_i32_e64 s6, v6
	s_cbranch_execz .LBB0_65
; %bb.62:
	v_add_co_u32 v8, vcc_lo, s24, v3
	v_add_co_ci_u32_e32 v9, vcc_lo, s25, v4, vcc_lo
	s_mov_b32 s10, exec_lo
	global_load_b32 v8, v[8:9], off
	s_waitcnt vmcnt(0)
	v_cmpx_ne_u32_e64 s8, v8
	s_cbranch_execz .LBB0_64
; %bb.63:
	v_sub_nc_u32_e32 v9, 0, v8
	v_sub_nc_u32_e32 v10, 0, v5
	v_ashrrev_i32_e32 v15, 31, v8
	v_ashrrev_i32_e32 v16, 31, v5
	s_delay_alu instid0(VALU_DEP_4) | instskip(NEXT) | instid1(VALU_DEP_4)
	v_max_i32_e32 v9, v8, v9
	v_max_i32_e32 v10, v5, v10
	s_delay_alu instid0(VALU_DEP_3) | instskip(NEXT) | instid1(VALU_DEP_3)
	v_xor_b32_e32 v16, s3, v16
	v_mul_hi_u32 v11, v9, v7
	s_delay_alu instid0(VALU_DEP_3) | instskip(NEXT) | instid1(VALU_DEP_2)
	v_mul_hi_u32 v12, v10, v7
	v_mul_lo_u32 v13, v11, s7
	s_delay_alu instid0(VALU_DEP_2) | instskip(NEXT) | instid1(VALU_DEP_2)
	v_mul_lo_u32 v14, v12, s7
	v_sub_nc_u32_e32 v9, v9, v13
	s_delay_alu instid0(VALU_DEP_2) | instskip(SKIP_1) | instid1(VALU_DEP_3)
	v_sub_nc_u32_e32 v10, v10, v14
	v_add_nc_u32_e32 v13, 1, v11
	v_cmp_le_u32_e32 vcc_lo, s7, v9
	v_add_nc_u32_e32 v14, 1, v12
	s_delay_alu instid0(VALU_DEP_4) | instskip(SKIP_3) | instid1(VALU_DEP_4)
	v_cmp_le_u32_e64 s2, s7, v10
	v_subrev_nc_u32_e32 v17, s7, v10
	v_cndmask_b32_e32 v11, v11, v13, vcc_lo
	v_subrev_nc_u32_e32 v13, s7, v9
	v_cndmask_b32_e64 v12, v12, v14, s2
	v_xor_b32_e32 v14, s3, v15
	v_cndmask_b32_e64 v10, v10, v17, s2
	s_delay_alu instid0(VALU_DEP_3) | instskip(SKIP_2) | instid1(VALU_DEP_2)
	v_add_nc_u32_e32 v15, 1, v12
	v_cndmask_b32_e32 v9, v9, v13, vcc_lo
	v_add_nc_u32_e32 v13, 1, v11
	v_cmp_le_u32_e32 vcc_lo, s7, v9
	s_delay_alu instid0(VALU_DEP_2) | instskip(SKIP_1) | instid1(VALU_DEP_2)
	v_cndmask_b32_e32 v9, v11, v13, vcc_lo
	v_cmp_le_u32_e32 vcc_lo, s7, v10
	v_xor_b32_e32 v9, v9, v14
	v_cndmask_b32_e32 v10, v12, v15, vcc_lo
	s_delay_alu instid0(VALU_DEP_2) | instskip(NEXT) | instid1(VALU_DEP_2)
	v_sub_nc_u32_e32 v9, v9, v14
	v_xor_b32_e32 v10, v10, v16
	s_delay_alu instid0(VALU_DEP_2) | instskip(NEXT) | instid1(VALU_DEP_2)
	v_mul_lo_u32 v11, v9, s4
	v_sub_nc_u32_e32 v10, v10, v16
	v_sub_nc_u32_e32 v9, v6, v9
	s_delay_alu instid0(VALU_DEP_2) | instskip(SKIP_2) | instid1(VALU_DEP_4)
	v_mul_lo_u32 v12, v10, s4
	v_sub_nc_u32_e32 v10, v6, v10
	v_sub_nc_u32_e32 v11, v11, v8
	v_mul_lo_u32 v9, v9, v9
	s_delay_alu instid0(VALU_DEP_3) | instskip(NEXT) | instid1(VALU_DEP_3)
	v_mul_lo_u32 v10, v10, v10
	v_add_nc_u32_e32 v13, v11, v0
	v_sub_nc_u32_e32 v12, v12, v5
	s_delay_alu instid0(VALU_DEP_1) | instskip(NEXT) | instid1(VALU_DEP_3)
	v_add_nc_u32_e32 v14, v12, v0
	v_mad_u64_u32 v[11:12], null, v13, v13, v[9:10]
	s_delay_alu instid0(VALU_DEP_1) | instskip(NEXT) | instid1(VALU_DEP_1)
	v_mad_u64_u32 v[12:13], null, v14, v14, v[10:11]
	v_cmp_lt_u32_e32 vcc_lo, v11, v12
	v_cndmask_b32_e32 v5, v5, v8, vcc_lo
.LBB0_64:
	s_or_b32 exec_lo, exec_lo, s10
.LBB0_65:
	s_delay_alu instid0(SALU_CYCLE_1) | instskip(SKIP_1) | instid1(VALU_DEP_1)
	s_or_b32 exec_lo, exec_lo, s9
	v_add_nc_u32_e32 v8, s6, v6
	v_cmp_gt_i32_e32 vcc_lo, s5, v8
	s_and_saveexec_b32 s5, vcc_lo
	s_cbranch_execz .LBB0_69
; %bb.66:
	v_add_co_u32 v3, vcc_lo, s20, v3
	v_add_co_ci_u32_e32 v4, vcc_lo, s21, v4, vcc_lo
	s_mov_b32 s6, exec_lo
	global_load_b32 v3, v[3:4], off
	s_waitcnt vmcnt(0)
	v_cmpx_ne_u32_e64 s8, v3
	s_cbranch_execz .LBB0_68
; %bb.67:
	v_sub_nc_u32_e32 v4, 0, v3
	v_sub_nc_u32_e32 v8, 0, v5
	v_ashrrev_i32_e32 v12, 31, v3
	v_ashrrev_i32_e32 v13, 31, v5
	s_delay_alu instid0(VALU_DEP_4) | instskip(NEXT) | instid1(VALU_DEP_4)
	v_max_i32_e32 v4, v3, v4
	v_max_i32_e32 v8, v5, v8
	s_delay_alu instid0(VALU_DEP_3) | instskip(NEXT) | instid1(VALU_DEP_3)
	v_xor_b32_e32 v13, s3, v13
	v_mul_hi_u32 v9, v4, v7
	s_delay_alu instid0(VALU_DEP_3) | instskip(NEXT) | instid1(VALU_DEP_2)
	v_mul_hi_u32 v7, v8, v7
	v_mul_lo_u32 v10, v9, s7
	s_delay_alu instid0(VALU_DEP_2) | instskip(NEXT) | instid1(VALU_DEP_2)
	v_mul_lo_u32 v11, v7, s7
	v_sub_nc_u32_e32 v4, v4, v10
	s_delay_alu instid0(VALU_DEP_2) | instskip(NEXT) | instid1(VALU_DEP_2)
	v_sub_nc_u32_e32 v8, v8, v11
	v_cmp_le_u32_e32 vcc_lo, s7, v4
	v_add_nc_u32_e32 v11, 1, v7
	s_delay_alu instid0(VALU_DEP_3) | instskip(SKIP_1) | instid1(VALU_DEP_2)
	v_cmp_le_u32_e64 s2, s7, v8
	v_subrev_nc_u32_e32 v14, s7, v8
	v_cndmask_b32_e64 v7, v7, v11, s2
	v_xor_b32_e32 v11, s3, v12
	s_delay_alu instid0(VALU_DEP_3) | instskip(NEXT) | instid1(VALU_DEP_3)
	v_cndmask_b32_e64 v8, v8, v14, s2
	v_add_nc_u32_e32 v12, 1, v7
	v_add_nc_u32_e32 v10, 1, v9
	s_delay_alu instid0(VALU_DEP_1) | instskip(SKIP_1) | instid1(VALU_DEP_1)
	v_cndmask_b32_e32 v9, v9, v10, vcc_lo
	v_subrev_nc_u32_e32 v10, s7, v4
	v_cndmask_b32_e32 v4, v4, v10, vcc_lo
	s_delay_alu instid0(VALU_DEP_3) | instskip(NEXT) | instid1(VALU_DEP_2)
	v_add_nc_u32_e32 v10, 1, v9
	v_cmp_le_u32_e32 vcc_lo, s7, v4
	s_delay_alu instid0(VALU_DEP_2) | instskip(SKIP_1) | instid1(VALU_DEP_2)
	v_cndmask_b32_e32 v4, v9, v10, vcc_lo
	v_cmp_le_u32_e32 vcc_lo, s7, v8
	v_xor_b32_e32 v4, v4, v11
	v_cndmask_b32_e32 v7, v7, v12, vcc_lo
	s_delay_alu instid0(VALU_DEP_2) | instskip(NEXT) | instid1(VALU_DEP_2)
	v_sub_nc_u32_e32 v4, v4, v11
	v_xor_b32_e32 v7, v7, v13
	s_delay_alu instid0(VALU_DEP_2) | instskip(NEXT) | instid1(VALU_DEP_2)
	v_mul_lo_u32 v8, v4, s4
	v_sub_nc_u32_e32 v7, v7, v13
	v_sub_nc_u32_e32 v4, v6, v4
	s_delay_alu instid0(VALU_DEP_2) | instskip(SKIP_2) | instid1(VALU_DEP_4)
	v_mul_lo_u32 v9, v7, s4
	v_sub_nc_u32_e32 v6, v6, v7
	v_sub_nc_u32_e32 v7, v8, v3
	v_mul_lo_u32 v4, v4, v4
	s_delay_alu instid0(VALU_DEP_3) | instskip(SKIP_1) | instid1(VALU_DEP_4)
	v_mul_lo_u32 v6, v6, v6
	v_sub_nc_u32_e32 v8, v9, v5
	v_add_nc_u32_e32 v9, v7, v0
	s_delay_alu instid0(VALU_DEP_2) | instskip(NEXT) | instid1(VALU_DEP_2)
	v_add_nc_u32_e32 v0, v8, v0
	v_mad_u64_u32 v[7:8], null, v9, v9, v[4:5]
	s_delay_alu instid0(VALU_DEP_1) | instskip(NEXT) | instid1(VALU_DEP_1)
	v_mad_u64_u32 v[8:9], null, v0, v0, v[6:7]
	v_cmp_lt_u32_e32 vcc_lo, v7, v8
	v_cndmask_b32_e32 v5, v5, v3, vcc_lo
.LBB0_68:
	s_or_b32 exec_lo, exec_lo, s6
.LBB0_69:
	s_delay_alu instid0(SALU_CYCLE_1)
	s_or_b32 exec_lo, exec_lo, s5
	s_mov_b32 s2, -1
.LBB0_70:
	s_delay_alu instid0(SALU_CYCLE_1)
	s_and_saveexec_b32 s3, s2
	s_cbranch_execnz .LBB0_72
; %bb.71:
	s_endpgm
.LBB0_72:
	s_load_b64 s[0:1], s[0:1], 0x50
	v_lshlrev_b64 v[0:1], 2, v[1:2]
	s_waitcnt lgkmcnt(0)
	s_delay_alu instid0(VALU_DEP_1) | instskip(NEXT) | instid1(VALU_DEP_2)
	v_add_co_u32 v0, vcc_lo, s0, v0
	v_add_co_ci_u32_e32 v1, vcc_lo, s1, v1, vcc_lo
	s_waitcnt vmcnt(0)
	flat_store_b32 v[0:1], v5
	s_endpgm
	.section	.rodata,"a",@progbits
	.p2align	6, 0x0
	.amdhsa_kernel _ZN6thrust23THRUST_200600_302600_NS11hip_rocprim14__parallel_for6kernelILj256ENS1_11__transform17unary_transform_fINS0_12zip_iteratorINS0_5tupleINS0_6detail15normal_iteratorINS0_10device_ptrIiEEEESC_SC_SC_SC_SC_SC_SC_SC_NS0_17counting_iteratorIiNS0_11use_defaultESE_SE_EEEEEESC_NS4_14no_stencil_tagE10minFunctorNS4_21always_true_predicateEEElLj1EEEvT0_T1_SN_
		.amdhsa_group_segment_fixed_size 0
		.amdhsa_private_segment_fixed_size 0
		.amdhsa_kernarg_size 120
		.amdhsa_user_sgpr_count 15
		.amdhsa_user_sgpr_dispatch_ptr 0
		.amdhsa_user_sgpr_queue_ptr 0
		.amdhsa_user_sgpr_kernarg_segment_ptr 1
		.amdhsa_user_sgpr_dispatch_id 0
		.amdhsa_user_sgpr_private_segment_size 0
		.amdhsa_wavefront_size32 1
		.amdhsa_uses_dynamic_stack 0
		.amdhsa_enable_private_segment 0
		.amdhsa_system_sgpr_workgroup_id_x 1
		.amdhsa_system_sgpr_workgroup_id_y 0
		.amdhsa_system_sgpr_workgroup_id_z 0
		.amdhsa_system_sgpr_workgroup_info 0
		.amdhsa_system_vgpr_workitem_id 0
		.amdhsa_next_free_vgpr 19
		.amdhsa_next_free_sgpr 36
		.amdhsa_reserve_vcc 1
		.amdhsa_float_round_mode_32 0
		.amdhsa_float_round_mode_16_64 0
		.amdhsa_float_denorm_mode_32 3
		.amdhsa_float_denorm_mode_16_64 3
		.amdhsa_dx10_clamp 1
		.amdhsa_ieee_mode 1
		.amdhsa_fp16_overflow 0
		.amdhsa_workgroup_processor_mode 1
		.amdhsa_memory_ordered 1
		.amdhsa_forward_progress 0
		.amdhsa_shared_vgpr_count 0
		.amdhsa_exception_fp_ieee_invalid_op 0
		.amdhsa_exception_fp_denorm_src 0
		.amdhsa_exception_fp_ieee_div_zero 0
		.amdhsa_exception_fp_ieee_overflow 0
		.amdhsa_exception_fp_ieee_underflow 0
		.amdhsa_exception_fp_ieee_inexact 0
		.amdhsa_exception_int_div_zero 0
	.end_amdhsa_kernel
	.section	.text._ZN6thrust23THRUST_200600_302600_NS11hip_rocprim14__parallel_for6kernelILj256ENS1_11__transform17unary_transform_fINS0_12zip_iteratorINS0_5tupleINS0_6detail15normal_iteratorINS0_10device_ptrIiEEEESC_SC_SC_SC_SC_SC_SC_SC_NS0_17counting_iteratorIiNS0_11use_defaultESE_SE_EEEEEESC_NS4_14no_stencil_tagE10minFunctorNS4_21always_true_predicateEEElLj1EEEvT0_T1_SN_,"axG",@progbits,_ZN6thrust23THRUST_200600_302600_NS11hip_rocprim14__parallel_for6kernelILj256ENS1_11__transform17unary_transform_fINS0_12zip_iteratorINS0_5tupleINS0_6detail15normal_iteratorINS0_10device_ptrIiEEEESC_SC_SC_SC_SC_SC_SC_SC_NS0_17counting_iteratorIiNS0_11use_defaultESE_SE_EEEEEESC_NS4_14no_stencil_tagE10minFunctorNS4_21always_true_predicateEEElLj1EEEvT0_T1_SN_,comdat
.Lfunc_end0:
	.size	_ZN6thrust23THRUST_200600_302600_NS11hip_rocprim14__parallel_for6kernelILj256ENS1_11__transform17unary_transform_fINS0_12zip_iteratorINS0_5tupleINS0_6detail15normal_iteratorINS0_10device_ptrIiEEEESC_SC_SC_SC_SC_SC_SC_SC_NS0_17counting_iteratorIiNS0_11use_defaultESE_SE_EEEEEESC_NS4_14no_stencil_tagE10minFunctorNS4_21always_true_predicateEEElLj1EEEvT0_T1_SN_, .Lfunc_end0-_ZN6thrust23THRUST_200600_302600_NS11hip_rocprim14__parallel_for6kernelILj256ENS1_11__transform17unary_transform_fINS0_12zip_iteratorINS0_5tupleINS0_6detail15normal_iteratorINS0_10device_ptrIiEEEESC_SC_SC_SC_SC_SC_SC_SC_NS0_17counting_iteratorIiNS0_11use_defaultESE_SE_EEEEEESC_NS4_14no_stencil_tagE10minFunctorNS4_21always_true_predicateEEElLj1EEEvT0_T1_SN_
                                        ; -- End function
	.section	.AMDGPU.csdata,"",@progbits
; Kernel info:
; codeLenInByte = 6680
; NumSgprs: 38
; NumVgprs: 19
; ScratchSize: 0
; MemoryBound: 0
; FloatMode: 240
; IeeeMode: 1
; LDSByteSize: 0 bytes/workgroup (compile time only)
; SGPRBlocks: 4
; VGPRBlocks: 2
; NumSGPRsForWavesPerEU: 38
; NumVGPRsForWavesPerEU: 19
; Occupancy: 16
; WaveLimiterHint : 1
; COMPUTE_PGM_RSRC2:SCRATCH_EN: 0
; COMPUTE_PGM_RSRC2:USER_SGPR: 15
; COMPUTE_PGM_RSRC2:TRAP_HANDLER: 0
; COMPUTE_PGM_RSRC2:TGID_X_EN: 1
; COMPUTE_PGM_RSRC2:TGID_Y_EN: 0
; COMPUTE_PGM_RSRC2:TGID_Z_EN: 0
; COMPUTE_PGM_RSRC2:TIDIG_COMP_CNT: 0
	.text
	.p2alignl 7, 3214868480
	.fill 96, 4, 3214868480
	.type	__hip_cuid_de48e73fe5c9f167,@object ; @__hip_cuid_de48e73fe5c9f167
	.section	.bss,"aw",@nobits
	.globl	__hip_cuid_de48e73fe5c9f167
__hip_cuid_de48e73fe5c9f167:
	.byte	0                               ; 0x0
	.size	__hip_cuid_de48e73fe5c9f167, 1

	.ident	"AMD clang version 19.0.0git (https://github.com/RadeonOpenCompute/llvm-project roc-6.4.0 25133 c7fe45cf4b819c5991fe208aaa96edf142730f1d)"
	.section	".note.GNU-stack","",@progbits
	.addrsig
	.addrsig_sym __hip_cuid_de48e73fe5c9f167
	.amdgpu_metadata
---
amdhsa.kernels:
  - .args:
      - .offset:         0
        .size:           104
        .value_kind:     by_value
      - .offset:         104
        .size:           8
        .value_kind:     by_value
      - .offset:         112
        .size:           8
        .value_kind:     by_value
    .group_segment_fixed_size: 0
    .kernarg_segment_align: 8
    .kernarg_segment_size: 120
    .language:       OpenCL C
    .language_version:
      - 2
      - 0
    .max_flat_workgroup_size: 256
    .name:           _ZN6thrust23THRUST_200600_302600_NS11hip_rocprim14__parallel_for6kernelILj256ENS1_11__transform17unary_transform_fINS0_12zip_iteratorINS0_5tupleINS0_6detail15normal_iteratorINS0_10device_ptrIiEEEESC_SC_SC_SC_SC_SC_SC_SC_NS0_17counting_iteratorIiNS0_11use_defaultESE_SE_EEEEEESC_NS4_14no_stencil_tagE10minFunctorNS4_21always_true_predicateEEElLj1EEEvT0_T1_SN_
    .private_segment_fixed_size: 0
    .sgpr_count:     38
    .sgpr_spill_count: 0
    .symbol:         _ZN6thrust23THRUST_200600_302600_NS11hip_rocprim14__parallel_for6kernelILj256ENS1_11__transform17unary_transform_fINS0_12zip_iteratorINS0_5tupleINS0_6detail15normal_iteratorINS0_10device_ptrIiEEEESC_SC_SC_SC_SC_SC_SC_SC_NS0_17counting_iteratorIiNS0_11use_defaultESE_SE_EEEEEESC_NS4_14no_stencil_tagE10minFunctorNS4_21always_true_predicateEEElLj1EEEvT0_T1_SN_.kd
    .uniform_work_group_size: 1
    .uses_dynamic_stack: false
    .vgpr_count:     19
    .vgpr_spill_count: 0
    .wavefront_size: 32
    .workgroup_processor_mode: 1
amdhsa.target:   amdgcn-amd-amdhsa--gfx1100
amdhsa.version:
  - 1
  - 2
...

	.end_amdgpu_metadata
